;; amdgpu-corpus repo=ROCm/hipCUB kind=compiled arch=gfx1250 opt=O3
	.amdgcn_target "amdgcn-amd-amdhsa--gfx1250"
	.amdhsa_code_object_version 6
	.section	.text._Z17warp_store_kernelILj256ELj4ELj32ELN6hipcub18WarpStoreAlgorithmE0EiEvPT3_,"axG",@progbits,_Z17warp_store_kernelILj256ELj4ELj32ELN6hipcub18WarpStoreAlgorithmE0EiEvPT3_,comdat
	.protected	_Z17warp_store_kernelILj256ELj4ELj32ELN6hipcub18WarpStoreAlgorithmE0EiEvPT3_ ; -- Begin function _Z17warp_store_kernelILj256ELj4ELj32ELN6hipcub18WarpStoreAlgorithmE0EiEvPT3_
	.globl	_Z17warp_store_kernelILj256ELj4ELj32ELN6hipcub18WarpStoreAlgorithmE0EiEvPT3_
	.p2align	8
	.type	_Z17warp_store_kernelILj256ELj4ELj32ELN6hipcub18WarpStoreAlgorithmE0EiEvPT3_,@function
_Z17warp_store_kernelILj256ELj4ELj32ELN6hipcub18WarpStoreAlgorithmE0EiEvPT3_: ; @_Z17warp_store_kernelILj256ELj4ELj32ELN6hipcub18WarpStoreAlgorithmE0EiEvPT3_
; %bb.0:
	s_load_b64 s[0:1], s[0:1], 0x0
	s_bfe_u32 s2, ttmp6, 0x4000c
	s_and_b32 s3, ttmp6, 15
	s_add_co_i32 s2, s2, 1
	s_getreg_b32 s4, hwreg(HW_REG_IB_STS2, 6, 4)
	s_mul_i32 s2, ttmp9, s2
	v_dual_mov_b32 v5, 0 :: v_dual_lshlrev_b32 v0, 2, v0
	s_add_co_i32 s3, s3, s2
	s_cmp_eq_u32 s4, 0
	v_mov_b32_e32 v1, 1
	s_cselect_b32 s2, ttmp9, s3
	s_delay_alu instid0(SALU_CYCLE_1) | instskip(NEXT) | instid1(SALU_CYCLE_1)
	s_lshl_b32 s2, s2, 10
	v_and_or_b32 v4, 0x380, v0, s2
	v_mbcnt_lo_u32_b32 v0, -1, 0
	s_wait_kmcnt 0x0
	s_delay_alu instid0(VALU_DEP_2) | instskip(NEXT) | instid1(VALU_DEP_2)
	v_lshl_add_u64 v[2:3], v[4:5], 2, s[0:1]
	v_dual_lshlrev_b32 v4, 4, v0 :: v_dual_mov_b32 v0, v5
	s_delay_alu instid0(VALU_DEP_1)
	v_add_nc_u64_e32 v[6:7], v[2:3], v[4:5]
	v_dual_mov_b32 v2, 2 :: v_dual_mov_b32 v3, 3
	global_store_b128 v[6:7], v[0:3], off
	s_endpgm
	.section	.rodata,"a",@progbits
	.p2align	6, 0x0
	.amdhsa_kernel _Z17warp_store_kernelILj256ELj4ELj32ELN6hipcub18WarpStoreAlgorithmE0EiEvPT3_
		.amdhsa_group_segment_fixed_size 0
		.amdhsa_private_segment_fixed_size 0
		.amdhsa_kernarg_size 8
		.amdhsa_user_sgpr_count 2
		.amdhsa_user_sgpr_dispatch_ptr 0
		.amdhsa_user_sgpr_queue_ptr 0
		.amdhsa_user_sgpr_kernarg_segment_ptr 1
		.amdhsa_user_sgpr_dispatch_id 0
		.amdhsa_user_sgpr_kernarg_preload_length 0
		.amdhsa_user_sgpr_kernarg_preload_offset 0
		.amdhsa_user_sgpr_private_segment_size 0
		.amdhsa_wavefront_size32 1
		.amdhsa_uses_dynamic_stack 0
		.amdhsa_enable_private_segment 0
		.amdhsa_system_sgpr_workgroup_id_x 1
		.amdhsa_system_sgpr_workgroup_id_y 0
		.amdhsa_system_sgpr_workgroup_id_z 0
		.amdhsa_system_sgpr_workgroup_info 0
		.amdhsa_system_vgpr_workitem_id 0
		.amdhsa_next_free_vgpr 8
		.amdhsa_next_free_sgpr 5
		.amdhsa_named_barrier_count 0
		.amdhsa_reserve_vcc 0
		.amdhsa_float_round_mode_32 0
		.amdhsa_float_round_mode_16_64 0
		.amdhsa_float_denorm_mode_32 3
		.amdhsa_float_denorm_mode_16_64 3
		.amdhsa_fp16_overflow 0
		.amdhsa_memory_ordered 1
		.amdhsa_forward_progress 1
		.amdhsa_inst_pref_size 2
		.amdhsa_round_robin_scheduling 0
		.amdhsa_exception_fp_ieee_invalid_op 0
		.amdhsa_exception_fp_denorm_src 0
		.amdhsa_exception_fp_ieee_div_zero 0
		.amdhsa_exception_fp_ieee_overflow 0
		.amdhsa_exception_fp_ieee_underflow 0
		.amdhsa_exception_fp_ieee_inexact 0
		.amdhsa_exception_int_div_zero 0
	.end_amdhsa_kernel
	.section	.text._Z17warp_store_kernelILj256ELj4ELj32ELN6hipcub18WarpStoreAlgorithmE0EiEvPT3_,"axG",@progbits,_Z17warp_store_kernelILj256ELj4ELj32ELN6hipcub18WarpStoreAlgorithmE0EiEvPT3_,comdat
.Lfunc_end0:
	.size	_Z17warp_store_kernelILj256ELj4ELj32ELN6hipcub18WarpStoreAlgorithmE0EiEvPT3_, .Lfunc_end0-_Z17warp_store_kernelILj256ELj4ELj32ELN6hipcub18WarpStoreAlgorithmE0EiEvPT3_
                                        ; -- End function
	.set _Z17warp_store_kernelILj256ELj4ELj32ELN6hipcub18WarpStoreAlgorithmE0EiEvPT3_.num_vgpr, 8
	.set _Z17warp_store_kernelILj256ELj4ELj32ELN6hipcub18WarpStoreAlgorithmE0EiEvPT3_.num_agpr, 0
	.set _Z17warp_store_kernelILj256ELj4ELj32ELN6hipcub18WarpStoreAlgorithmE0EiEvPT3_.numbered_sgpr, 5
	.set _Z17warp_store_kernelILj256ELj4ELj32ELN6hipcub18WarpStoreAlgorithmE0EiEvPT3_.num_named_barrier, 0
	.set _Z17warp_store_kernelILj256ELj4ELj32ELN6hipcub18WarpStoreAlgorithmE0EiEvPT3_.private_seg_size, 0
	.set _Z17warp_store_kernelILj256ELj4ELj32ELN6hipcub18WarpStoreAlgorithmE0EiEvPT3_.uses_vcc, 0
	.set _Z17warp_store_kernelILj256ELj4ELj32ELN6hipcub18WarpStoreAlgorithmE0EiEvPT3_.uses_flat_scratch, 0
	.set _Z17warp_store_kernelILj256ELj4ELj32ELN6hipcub18WarpStoreAlgorithmE0EiEvPT3_.has_dyn_sized_stack, 0
	.set _Z17warp_store_kernelILj256ELj4ELj32ELN6hipcub18WarpStoreAlgorithmE0EiEvPT3_.has_recursion, 0
	.set _Z17warp_store_kernelILj256ELj4ELj32ELN6hipcub18WarpStoreAlgorithmE0EiEvPT3_.has_indirect_call, 0
	.section	.AMDGPU.csdata,"",@progbits
; Kernel info:
; codeLenInByte = 144
; TotalNumSgprs: 5
; NumVgprs: 8
; ScratchSize: 0
; MemoryBound: 0
; FloatMode: 240
; IeeeMode: 1
; LDSByteSize: 0 bytes/workgroup (compile time only)
; SGPRBlocks: 0
; VGPRBlocks: 0
; NumSGPRsForWavesPerEU: 5
; NumVGPRsForWavesPerEU: 8
; NamedBarCnt: 0
; Occupancy: 16
; WaveLimiterHint : 0
; COMPUTE_PGM_RSRC2:SCRATCH_EN: 0
; COMPUTE_PGM_RSRC2:USER_SGPR: 2
; COMPUTE_PGM_RSRC2:TRAP_HANDLER: 0
; COMPUTE_PGM_RSRC2:TGID_X_EN: 1
; COMPUTE_PGM_RSRC2:TGID_Y_EN: 0
; COMPUTE_PGM_RSRC2:TGID_Z_EN: 0
; COMPUTE_PGM_RSRC2:TIDIG_COMP_CNT: 0
	.section	.text._Z17warp_store_kernelILj256ELj4ELj32ELN6hipcub18WarpStoreAlgorithmE1EiEvPT3_,"axG",@progbits,_Z17warp_store_kernelILj256ELj4ELj32ELN6hipcub18WarpStoreAlgorithmE1EiEvPT3_,comdat
	.protected	_Z17warp_store_kernelILj256ELj4ELj32ELN6hipcub18WarpStoreAlgorithmE1EiEvPT3_ ; -- Begin function _Z17warp_store_kernelILj256ELj4ELj32ELN6hipcub18WarpStoreAlgorithmE1EiEvPT3_
	.globl	_Z17warp_store_kernelILj256ELj4ELj32ELN6hipcub18WarpStoreAlgorithmE1EiEvPT3_
	.p2align	8
	.type	_Z17warp_store_kernelILj256ELj4ELj32ELN6hipcub18WarpStoreAlgorithmE1EiEvPT3_,@function
_Z17warp_store_kernelILj256ELj4ELj32ELN6hipcub18WarpStoreAlgorithmE1EiEvPT3_: ; @_Z17warp_store_kernelILj256ELj4ELj32ELN6hipcub18WarpStoreAlgorithmE1EiEvPT3_
; %bb.0:
	s_load_b64 s[0:1], s[0:1], 0x0
	s_bfe_u32 s2, ttmp6, 0x4000c
	s_and_b32 s3, ttmp6, 15
	s_add_co_i32 s2, s2, 1
	s_getreg_b32 s4, hwreg(HW_REG_IB_STS2, 6, 4)
	s_mul_i32 s2, ttmp9, s2
	v_dual_mov_b32 v1, 0 :: v_dual_lshlrev_b32 v0, 2, v0
	s_add_co_i32 s3, s3, s2
	s_cmp_eq_u32 s4, 0
	v_mbcnt_lo_u32_b32 v4, -1, 0
	s_cselect_b32 s2, ttmp9, s3
	v_mov_b32_e32 v5, 3
	s_lshl_b32 s2, s2, 10
	s_delay_alu instid0(SALU_CYCLE_1) | instskip(SKIP_1) | instid1(VALU_DEP_1)
	v_and_or_b32 v0, 0x380, v0, s2
	s_wait_kmcnt 0x0
	v_lshl_add_u64 v[2:3], v[0:1], 2, s[0:1]
	v_dual_lshlrev_b32 v0, 2, v4 :: v_dual_mov_b32 v4, 2
	s_delay_alu instid0(VALU_DEP_1)
	v_add_nc_u64_e32 v[2:3], v[2:3], v[0:1]
	v_mov_b32_e32 v0, 1
	s_clause 0x3
	global_store_b32 v[2:3], v1, off
	global_store_b32 v[2:3], v0, off offset:128
	global_store_b32 v[2:3], v4, off offset:256
	;; [unrolled: 1-line block ×3, first 2 shown]
	s_endpgm
	.section	.rodata,"a",@progbits
	.p2align	6, 0x0
	.amdhsa_kernel _Z17warp_store_kernelILj256ELj4ELj32ELN6hipcub18WarpStoreAlgorithmE1EiEvPT3_
		.amdhsa_group_segment_fixed_size 0
		.amdhsa_private_segment_fixed_size 0
		.amdhsa_kernarg_size 8
		.amdhsa_user_sgpr_count 2
		.amdhsa_user_sgpr_dispatch_ptr 0
		.amdhsa_user_sgpr_queue_ptr 0
		.amdhsa_user_sgpr_kernarg_segment_ptr 1
		.amdhsa_user_sgpr_dispatch_id 0
		.amdhsa_user_sgpr_kernarg_preload_length 0
		.amdhsa_user_sgpr_kernarg_preload_offset 0
		.amdhsa_user_sgpr_private_segment_size 0
		.amdhsa_wavefront_size32 1
		.amdhsa_uses_dynamic_stack 0
		.amdhsa_enable_private_segment 0
		.amdhsa_system_sgpr_workgroup_id_x 1
		.amdhsa_system_sgpr_workgroup_id_y 0
		.amdhsa_system_sgpr_workgroup_id_z 0
		.amdhsa_system_sgpr_workgroup_info 0
		.amdhsa_system_vgpr_workitem_id 0
		.amdhsa_next_free_vgpr 6
		.amdhsa_next_free_sgpr 5
		.amdhsa_named_barrier_count 0
		.amdhsa_reserve_vcc 0
		.amdhsa_float_round_mode_32 0
		.amdhsa_float_round_mode_16_64 0
		.amdhsa_float_denorm_mode_32 3
		.amdhsa_float_denorm_mode_16_64 3
		.amdhsa_fp16_overflow 0
		.amdhsa_memory_ordered 1
		.amdhsa_forward_progress 1
		.amdhsa_inst_pref_size 2
		.amdhsa_round_robin_scheduling 0
		.amdhsa_exception_fp_ieee_invalid_op 0
		.amdhsa_exception_fp_denorm_src 0
		.amdhsa_exception_fp_ieee_div_zero 0
		.amdhsa_exception_fp_ieee_overflow 0
		.amdhsa_exception_fp_ieee_underflow 0
		.amdhsa_exception_fp_ieee_inexact 0
		.amdhsa_exception_int_div_zero 0
	.end_amdhsa_kernel
	.section	.text._Z17warp_store_kernelILj256ELj4ELj32ELN6hipcub18WarpStoreAlgorithmE1EiEvPT3_,"axG",@progbits,_Z17warp_store_kernelILj256ELj4ELj32ELN6hipcub18WarpStoreAlgorithmE1EiEvPT3_,comdat
.Lfunc_end1:
	.size	_Z17warp_store_kernelILj256ELj4ELj32ELN6hipcub18WarpStoreAlgorithmE1EiEvPT3_, .Lfunc_end1-_Z17warp_store_kernelILj256ELj4ELj32ELN6hipcub18WarpStoreAlgorithmE1EiEvPT3_
                                        ; -- End function
	.set _Z17warp_store_kernelILj256ELj4ELj32ELN6hipcub18WarpStoreAlgorithmE1EiEvPT3_.num_vgpr, 6
	.set _Z17warp_store_kernelILj256ELj4ELj32ELN6hipcub18WarpStoreAlgorithmE1EiEvPT3_.num_agpr, 0
	.set _Z17warp_store_kernelILj256ELj4ELj32ELN6hipcub18WarpStoreAlgorithmE1EiEvPT3_.numbered_sgpr, 5
	.set _Z17warp_store_kernelILj256ELj4ELj32ELN6hipcub18WarpStoreAlgorithmE1EiEvPT3_.num_named_barrier, 0
	.set _Z17warp_store_kernelILj256ELj4ELj32ELN6hipcub18WarpStoreAlgorithmE1EiEvPT3_.private_seg_size, 0
	.set _Z17warp_store_kernelILj256ELj4ELj32ELN6hipcub18WarpStoreAlgorithmE1EiEvPT3_.uses_vcc, 0
	.set _Z17warp_store_kernelILj256ELj4ELj32ELN6hipcub18WarpStoreAlgorithmE1EiEvPT3_.uses_flat_scratch, 0
	.set _Z17warp_store_kernelILj256ELj4ELj32ELN6hipcub18WarpStoreAlgorithmE1EiEvPT3_.has_dyn_sized_stack, 0
	.set _Z17warp_store_kernelILj256ELj4ELj32ELN6hipcub18WarpStoreAlgorithmE1EiEvPT3_.has_recursion, 0
	.set _Z17warp_store_kernelILj256ELj4ELj32ELN6hipcub18WarpStoreAlgorithmE1EiEvPT3_.has_indirect_call, 0
	.section	.AMDGPU.csdata,"",@progbits
; Kernel info:
; codeLenInByte = 176
; TotalNumSgprs: 5
; NumVgprs: 6
; ScratchSize: 0
; MemoryBound: 0
; FloatMode: 240
; IeeeMode: 1
; LDSByteSize: 0 bytes/workgroup (compile time only)
; SGPRBlocks: 0
; VGPRBlocks: 0
; NumSGPRsForWavesPerEU: 5
; NumVGPRsForWavesPerEU: 6
; NamedBarCnt: 0
; Occupancy: 16
; WaveLimiterHint : 1
; COMPUTE_PGM_RSRC2:SCRATCH_EN: 0
; COMPUTE_PGM_RSRC2:USER_SGPR: 2
; COMPUTE_PGM_RSRC2:TRAP_HANDLER: 0
; COMPUTE_PGM_RSRC2:TGID_X_EN: 1
; COMPUTE_PGM_RSRC2:TGID_Y_EN: 0
; COMPUTE_PGM_RSRC2:TGID_Z_EN: 0
; COMPUTE_PGM_RSRC2:TIDIG_COMP_CNT: 0
	.section	.text._Z17warp_store_kernelILj256ELj4ELj32ELN6hipcub18WarpStoreAlgorithmE2EiEvPT3_,"axG",@progbits,_Z17warp_store_kernelILj256ELj4ELj32ELN6hipcub18WarpStoreAlgorithmE2EiEvPT3_,comdat
	.protected	_Z17warp_store_kernelILj256ELj4ELj32ELN6hipcub18WarpStoreAlgorithmE2EiEvPT3_ ; -- Begin function _Z17warp_store_kernelILj256ELj4ELj32ELN6hipcub18WarpStoreAlgorithmE2EiEvPT3_
	.globl	_Z17warp_store_kernelILj256ELj4ELj32ELN6hipcub18WarpStoreAlgorithmE2EiEvPT3_
	.p2align	8
	.type	_Z17warp_store_kernelILj256ELj4ELj32ELN6hipcub18WarpStoreAlgorithmE2EiEvPT3_,@function
_Z17warp_store_kernelILj256ELj4ELj32ELN6hipcub18WarpStoreAlgorithmE2EiEvPT3_: ; @_Z17warp_store_kernelILj256ELj4ELj32ELN6hipcub18WarpStoreAlgorithmE2EiEvPT3_
; %bb.0:
	s_load_b64 s[0:1], s[0:1], 0x0
	s_bfe_u32 s2, ttmp6, 0x4000c
	s_and_b32 s3, ttmp6, 15
	s_add_co_i32 s2, s2, 1
	s_getreg_b32 s4, hwreg(HW_REG_IB_STS2, 6, 4)
	s_mul_i32 s2, ttmp9, s2
	v_dual_mov_b32 v5, 0 :: v_dual_lshlrev_b32 v0, 2, v0
	s_add_co_i32 s3, s3, s2
	s_cmp_eq_u32 s4, 0
	v_mov_b32_e32 v1, 1
	s_cselect_b32 s2, ttmp9, s3
	s_delay_alu instid0(SALU_CYCLE_1) | instskip(NEXT) | instid1(SALU_CYCLE_1)
	s_lshl_b32 s2, s2, 10
	v_and_or_b32 v4, 0x380, v0, s2
	v_mbcnt_lo_u32_b32 v0, -1, 0
	s_wait_kmcnt 0x0
	s_delay_alu instid0(VALU_DEP_2) | instskip(NEXT) | instid1(VALU_DEP_2)
	v_lshl_add_u64 v[2:3], v[4:5], 2, s[0:1]
	v_dual_lshlrev_b32 v4, 4, v0 :: v_dual_mov_b32 v0, v5
	s_delay_alu instid0(VALU_DEP_1)
	v_add_nc_u64_e32 v[6:7], v[2:3], v[4:5]
	v_dual_mov_b32 v2, 2 :: v_dual_mov_b32 v3, 3
	global_store_b128 v[6:7], v[0:3], off
	s_endpgm
	.section	.rodata,"a",@progbits
	.p2align	6, 0x0
	.amdhsa_kernel _Z17warp_store_kernelILj256ELj4ELj32ELN6hipcub18WarpStoreAlgorithmE2EiEvPT3_
		.amdhsa_group_segment_fixed_size 0
		.amdhsa_private_segment_fixed_size 0
		.amdhsa_kernarg_size 8
		.amdhsa_user_sgpr_count 2
		.amdhsa_user_sgpr_dispatch_ptr 0
		.amdhsa_user_sgpr_queue_ptr 0
		.amdhsa_user_sgpr_kernarg_segment_ptr 1
		.amdhsa_user_sgpr_dispatch_id 0
		.amdhsa_user_sgpr_kernarg_preload_length 0
		.amdhsa_user_sgpr_kernarg_preload_offset 0
		.amdhsa_user_sgpr_private_segment_size 0
		.amdhsa_wavefront_size32 1
		.amdhsa_uses_dynamic_stack 0
		.amdhsa_enable_private_segment 0
		.amdhsa_system_sgpr_workgroup_id_x 1
		.amdhsa_system_sgpr_workgroup_id_y 0
		.amdhsa_system_sgpr_workgroup_id_z 0
		.amdhsa_system_sgpr_workgroup_info 0
		.amdhsa_system_vgpr_workitem_id 0
		.amdhsa_next_free_vgpr 8
		.amdhsa_next_free_sgpr 5
		.amdhsa_named_barrier_count 0
		.amdhsa_reserve_vcc 0
		.amdhsa_float_round_mode_32 0
		.amdhsa_float_round_mode_16_64 0
		.amdhsa_float_denorm_mode_32 3
		.amdhsa_float_denorm_mode_16_64 3
		.amdhsa_fp16_overflow 0
		.amdhsa_memory_ordered 1
		.amdhsa_forward_progress 1
		.amdhsa_inst_pref_size 2
		.amdhsa_round_robin_scheduling 0
		.amdhsa_exception_fp_ieee_invalid_op 0
		.amdhsa_exception_fp_denorm_src 0
		.amdhsa_exception_fp_ieee_div_zero 0
		.amdhsa_exception_fp_ieee_overflow 0
		.amdhsa_exception_fp_ieee_underflow 0
		.amdhsa_exception_fp_ieee_inexact 0
		.amdhsa_exception_int_div_zero 0
	.end_amdhsa_kernel
	.section	.text._Z17warp_store_kernelILj256ELj4ELj32ELN6hipcub18WarpStoreAlgorithmE2EiEvPT3_,"axG",@progbits,_Z17warp_store_kernelILj256ELj4ELj32ELN6hipcub18WarpStoreAlgorithmE2EiEvPT3_,comdat
.Lfunc_end2:
	.size	_Z17warp_store_kernelILj256ELj4ELj32ELN6hipcub18WarpStoreAlgorithmE2EiEvPT3_, .Lfunc_end2-_Z17warp_store_kernelILj256ELj4ELj32ELN6hipcub18WarpStoreAlgorithmE2EiEvPT3_
                                        ; -- End function
	.set _Z17warp_store_kernelILj256ELj4ELj32ELN6hipcub18WarpStoreAlgorithmE2EiEvPT3_.num_vgpr, 8
	.set _Z17warp_store_kernelILj256ELj4ELj32ELN6hipcub18WarpStoreAlgorithmE2EiEvPT3_.num_agpr, 0
	.set _Z17warp_store_kernelILj256ELj4ELj32ELN6hipcub18WarpStoreAlgorithmE2EiEvPT3_.numbered_sgpr, 5
	.set _Z17warp_store_kernelILj256ELj4ELj32ELN6hipcub18WarpStoreAlgorithmE2EiEvPT3_.num_named_barrier, 0
	.set _Z17warp_store_kernelILj256ELj4ELj32ELN6hipcub18WarpStoreAlgorithmE2EiEvPT3_.private_seg_size, 0
	.set _Z17warp_store_kernelILj256ELj4ELj32ELN6hipcub18WarpStoreAlgorithmE2EiEvPT3_.uses_vcc, 0
	.set _Z17warp_store_kernelILj256ELj4ELj32ELN6hipcub18WarpStoreAlgorithmE2EiEvPT3_.uses_flat_scratch, 0
	.set _Z17warp_store_kernelILj256ELj4ELj32ELN6hipcub18WarpStoreAlgorithmE2EiEvPT3_.has_dyn_sized_stack, 0
	.set _Z17warp_store_kernelILj256ELj4ELj32ELN6hipcub18WarpStoreAlgorithmE2EiEvPT3_.has_recursion, 0
	.set _Z17warp_store_kernelILj256ELj4ELj32ELN6hipcub18WarpStoreAlgorithmE2EiEvPT3_.has_indirect_call, 0
	.section	.AMDGPU.csdata,"",@progbits
; Kernel info:
; codeLenInByte = 144
; TotalNumSgprs: 5
; NumVgprs: 8
; ScratchSize: 0
; MemoryBound: 0
; FloatMode: 240
; IeeeMode: 1
; LDSByteSize: 0 bytes/workgroup (compile time only)
; SGPRBlocks: 0
; VGPRBlocks: 0
; NumSGPRsForWavesPerEU: 5
; NumVGPRsForWavesPerEU: 8
; NamedBarCnt: 0
; Occupancy: 16
; WaveLimiterHint : 0
; COMPUTE_PGM_RSRC2:SCRATCH_EN: 0
; COMPUTE_PGM_RSRC2:USER_SGPR: 2
; COMPUTE_PGM_RSRC2:TRAP_HANDLER: 0
; COMPUTE_PGM_RSRC2:TGID_X_EN: 1
; COMPUTE_PGM_RSRC2:TGID_Y_EN: 0
; COMPUTE_PGM_RSRC2:TGID_Z_EN: 0
; COMPUTE_PGM_RSRC2:TIDIG_COMP_CNT: 0
	.section	.text._Z17warp_store_kernelILj256ELj4ELj32ELN6hipcub18WarpStoreAlgorithmE3EiEvPT3_,"axG",@progbits,_Z17warp_store_kernelILj256ELj4ELj32ELN6hipcub18WarpStoreAlgorithmE3EiEvPT3_,comdat
	.protected	_Z17warp_store_kernelILj256ELj4ELj32ELN6hipcub18WarpStoreAlgorithmE3EiEvPT3_ ; -- Begin function _Z17warp_store_kernelILj256ELj4ELj32ELN6hipcub18WarpStoreAlgorithmE3EiEvPT3_
	.globl	_Z17warp_store_kernelILj256ELj4ELj32ELN6hipcub18WarpStoreAlgorithmE3EiEvPT3_
	.p2align	8
	.type	_Z17warp_store_kernelILj256ELj4ELj32ELN6hipcub18WarpStoreAlgorithmE3EiEvPT3_,@function
_Z17warp_store_kernelILj256ELj4ELj32ELN6hipcub18WarpStoreAlgorithmE3EiEvPT3_: ; @_Z17warp_store_kernelILj256ELj4ELj32ELN6hipcub18WarpStoreAlgorithmE3EiEvPT3_
; %bb.0:
	v_mbcnt_lo_u32_b32 v8, -1, 0
	v_dual_mov_b32 v5, 0 :: v_dual_lshrrev_b32 v4, 5, v0
	s_load_b64 s[0:1], s[0:1], 0x0
	s_bfe_u32 s2, ttmp6, 0x4000c
	s_delay_alu instid0(VALU_DEP_2) | instskip(SKIP_3) | instid1(VALU_DEP_1)
	v_dual_mov_b32 v1, 1 :: v_dual_lshlrev_b32 v0, 4, v8
	s_add_co_i32 s2, s2, 1
	s_and_b32 s3, ttmp6, 15
	s_mul_i32 s2, ttmp9, s2
	v_lshl_or_b32 v6, v4, 9, v0
	s_getreg_b32 s4, hwreg(HW_REG_IB_STS2, 6, 4)
	v_dual_mov_b32 v2, 2 :: v_dual_mov_b32 v3, 3
	v_mov_b32_e32 v0, v5
	s_delay_alu instid0(VALU_DEP_3)
	v_mad_i32_i24 v7, v8, -12, v6
	s_add_co_i32 s3, s3, s2
	s_cmp_eq_u32 s4, 0
	s_cselect_b32 s2, ttmp9, s3
	ds_store_b128 v6, v[0:3]
	; wave barrier
	ds_load_2addr_b32 v[0:1], v7 offset1:32
	s_lshl_b32 s2, s2, 10
	ds_load_2addr_b32 v[2:3], v7 offset0:64 offset1:96
	v_lshl_or_b32 v4, v4, 7, s2
	s_wait_kmcnt 0x0
	s_delay_alu instid0(VALU_DEP_1) | instskip(SKIP_1) | instid1(VALU_DEP_1)
	v_lshl_add_u64 v[6:7], v[4:5], 2, s[0:1]
	v_lshlrev_b32_e32 v4, 2, v8
	v_add_nc_u64_e32 v[4:5], v[6:7], v[4:5]
	s_wait_dscnt 0x1
	s_clause 0x1
	global_store_b32 v[4:5], v0, off
	global_store_b32 v[4:5], v1, off offset:128
	s_wait_dscnt 0x0
	s_clause 0x1
	global_store_b32 v[4:5], v2, off offset:256
	global_store_b32 v[4:5], v3, off offset:384
	s_endpgm
	.section	.rodata,"a",@progbits
	.p2align	6, 0x0
	.amdhsa_kernel _Z17warp_store_kernelILj256ELj4ELj32ELN6hipcub18WarpStoreAlgorithmE3EiEvPT3_
		.amdhsa_group_segment_fixed_size 4096
		.amdhsa_private_segment_fixed_size 0
		.amdhsa_kernarg_size 8
		.amdhsa_user_sgpr_count 2
		.amdhsa_user_sgpr_dispatch_ptr 0
		.amdhsa_user_sgpr_queue_ptr 0
		.amdhsa_user_sgpr_kernarg_segment_ptr 1
		.amdhsa_user_sgpr_dispatch_id 0
		.amdhsa_user_sgpr_kernarg_preload_length 0
		.amdhsa_user_sgpr_kernarg_preload_offset 0
		.amdhsa_user_sgpr_private_segment_size 0
		.amdhsa_wavefront_size32 1
		.amdhsa_uses_dynamic_stack 0
		.amdhsa_enable_private_segment 0
		.amdhsa_system_sgpr_workgroup_id_x 1
		.amdhsa_system_sgpr_workgroup_id_y 0
		.amdhsa_system_sgpr_workgroup_id_z 0
		.amdhsa_system_sgpr_workgroup_info 0
		.amdhsa_system_vgpr_workitem_id 0
		.amdhsa_next_free_vgpr 9
		.amdhsa_next_free_sgpr 5
		.amdhsa_named_barrier_count 0
		.amdhsa_reserve_vcc 0
		.amdhsa_float_round_mode_32 0
		.amdhsa_float_round_mode_16_64 0
		.amdhsa_float_denorm_mode_32 3
		.amdhsa_float_denorm_mode_16_64 3
		.amdhsa_fp16_overflow 0
		.amdhsa_memory_ordered 1
		.amdhsa_forward_progress 1
		.amdhsa_inst_pref_size 2
		.amdhsa_round_robin_scheduling 0
		.amdhsa_exception_fp_ieee_invalid_op 0
		.amdhsa_exception_fp_denorm_src 0
		.amdhsa_exception_fp_ieee_div_zero 0
		.amdhsa_exception_fp_ieee_overflow 0
		.amdhsa_exception_fp_ieee_underflow 0
		.amdhsa_exception_fp_ieee_inexact 0
		.amdhsa_exception_int_div_zero 0
	.end_amdhsa_kernel
	.section	.text._Z17warp_store_kernelILj256ELj4ELj32ELN6hipcub18WarpStoreAlgorithmE3EiEvPT3_,"axG",@progbits,_Z17warp_store_kernelILj256ELj4ELj32ELN6hipcub18WarpStoreAlgorithmE3EiEvPT3_,comdat
.Lfunc_end3:
	.size	_Z17warp_store_kernelILj256ELj4ELj32ELN6hipcub18WarpStoreAlgorithmE3EiEvPT3_, .Lfunc_end3-_Z17warp_store_kernelILj256ELj4ELj32ELN6hipcub18WarpStoreAlgorithmE3EiEvPT3_
                                        ; -- End function
	.set _Z17warp_store_kernelILj256ELj4ELj32ELN6hipcub18WarpStoreAlgorithmE3EiEvPT3_.num_vgpr, 9
	.set _Z17warp_store_kernelILj256ELj4ELj32ELN6hipcub18WarpStoreAlgorithmE3EiEvPT3_.num_agpr, 0
	.set _Z17warp_store_kernelILj256ELj4ELj32ELN6hipcub18WarpStoreAlgorithmE3EiEvPT3_.numbered_sgpr, 5
	.set _Z17warp_store_kernelILj256ELj4ELj32ELN6hipcub18WarpStoreAlgorithmE3EiEvPT3_.num_named_barrier, 0
	.set _Z17warp_store_kernelILj256ELj4ELj32ELN6hipcub18WarpStoreAlgorithmE3EiEvPT3_.private_seg_size, 0
	.set _Z17warp_store_kernelILj256ELj4ELj32ELN6hipcub18WarpStoreAlgorithmE3EiEvPT3_.uses_vcc, 0
	.set _Z17warp_store_kernelILj256ELj4ELj32ELN6hipcub18WarpStoreAlgorithmE3EiEvPT3_.uses_flat_scratch, 0
	.set _Z17warp_store_kernelILj256ELj4ELj32ELN6hipcub18WarpStoreAlgorithmE3EiEvPT3_.has_dyn_sized_stack, 0
	.set _Z17warp_store_kernelILj256ELj4ELj32ELN6hipcub18WarpStoreAlgorithmE3EiEvPT3_.has_recursion, 0
	.set _Z17warp_store_kernelILj256ELj4ELj32ELN6hipcub18WarpStoreAlgorithmE3EiEvPT3_.has_indirect_call, 0
	.section	.AMDGPU.csdata,"",@progbits
; Kernel info:
; codeLenInByte = 232
; TotalNumSgprs: 5
; NumVgprs: 9
; ScratchSize: 0
; MemoryBound: 0
; FloatMode: 240
; IeeeMode: 1
; LDSByteSize: 4096 bytes/workgroup (compile time only)
; SGPRBlocks: 0
; VGPRBlocks: 0
; NumSGPRsForWavesPerEU: 5
; NumVGPRsForWavesPerEU: 9
; NamedBarCnt: 0
; Occupancy: 16
; WaveLimiterHint : 1
; COMPUTE_PGM_RSRC2:SCRATCH_EN: 0
; COMPUTE_PGM_RSRC2:USER_SGPR: 2
; COMPUTE_PGM_RSRC2:TRAP_HANDLER: 0
; COMPUTE_PGM_RSRC2:TGID_X_EN: 1
; COMPUTE_PGM_RSRC2:TGID_Y_EN: 0
; COMPUTE_PGM_RSRC2:TGID_Z_EN: 0
; COMPUTE_PGM_RSRC2:TIDIG_COMP_CNT: 0
	.section	.text._Z17warp_store_kernelILj256ELj8ELj32ELN6hipcub18WarpStoreAlgorithmE0EiEvPT3_,"axG",@progbits,_Z17warp_store_kernelILj256ELj8ELj32ELN6hipcub18WarpStoreAlgorithmE0EiEvPT3_,comdat
	.protected	_Z17warp_store_kernelILj256ELj8ELj32ELN6hipcub18WarpStoreAlgorithmE0EiEvPT3_ ; -- Begin function _Z17warp_store_kernelILj256ELj8ELj32ELN6hipcub18WarpStoreAlgorithmE0EiEvPT3_
	.globl	_Z17warp_store_kernelILj256ELj8ELj32ELN6hipcub18WarpStoreAlgorithmE0EiEvPT3_
	.p2align	8
	.type	_Z17warp_store_kernelILj256ELj8ELj32ELN6hipcub18WarpStoreAlgorithmE0EiEvPT3_,@function
_Z17warp_store_kernelILj256ELj8ELj32ELN6hipcub18WarpStoreAlgorithmE0EiEvPT3_: ; @_Z17warp_store_kernelILj256ELj8ELj32ELN6hipcub18WarpStoreAlgorithmE0EiEvPT3_
; %bb.0:
	s_load_b64 s[0:1], s[0:1], 0x0
	s_bfe_u32 s2, ttmp6, 0x4000c
	s_and_b32 s3, ttmp6, 15
	s_add_co_i32 s2, s2, 1
	s_getreg_b32 s4, hwreg(HW_REG_IB_STS2, 6, 4)
	s_mul_i32 s2, ttmp9, s2
	v_dual_mov_b32 v7, 0 :: v_dual_lshlrev_b32 v0, 3, v0
	s_add_co_i32 s3, s3, s2
	s_cmp_eq_u32 s4, 0
	v_dual_mov_b32 v2, 2 :: v_dual_mov_b32 v3, 3
	s_cselect_b32 s2, ttmp9, s3
	v_dual_mov_b32 v4, 4 :: v_dual_mov_b32 v5, 5
	s_lshl_b32 s2, s2, 11
	s_delay_alu instid0(SALU_CYCLE_1) | instskip(SKIP_3) | instid1(VALU_DEP_3)
	v_and_or_b32 v6, 0x700, v0, s2
	v_mbcnt_lo_u32_b32 v0, -1, 0
	v_mov_b32_e32 v1, 1
	s_wait_kmcnt 0x0
	v_lshl_add_u64 v[8:9], v[6:7], 2, s[0:1]
	s_delay_alu instid0(VALU_DEP_3) | instskip(NEXT) | instid1(VALU_DEP_1)
	v_dual_lshlrev_b32 v6, 5, v0 :: v_dual_mov_b32 v0, v7
	v_add_nc_u64_e32 v[8:9], v[8:9], v[6:7]
	v_dual_mov_b32 v6, 6 :: v_dual_mov_b32 v7, 7
	s_clause 0x1
	global_store_b128 v[8:9], v[0:3], off
	global_store_b128 v[8:9], v[4:7], off offset:16
	s_endpgm
	.section	.rodata,"a",@progbits
	.p2align	6, 0x0
	.amdhsa_kernel _Z17warp_store_kernelILj256ELj8ELj32ELN6hipcub18WarpStoreAlgorithmE0EiEvPT3_
		.amdhsa_group_segment_fixed_size 0
		.amdhsa_private_segment_fixed_size 0
		.amdhsa_kernarg_size 8
		.amdhsa_user_sgpr_count 2
		.amdhsa_user_sgpr_dispatch_ptr 0
		.amdhsa_user_sgpr_queue_ptr 0
		.amdhsa_user_sgpr_kernarg_segment_ptr 1
		.amdhsa_user_sgpr_dispatch_id 0
		.amdhsa_user_sgpr_kernarg_preload_length 0
		.amdhsa_user_sgpr_kernarg_preload_offset 0
		.amdhsa_user_sgpr_private_segment_size 0
		.amdhsa_wavefront_size32 1
		.amdhsa_uses_dynamic_stack 0
		.amdhsa_enable_private_segment 0
		.amdhsa_system_sgpr_workgroup_id_x 1
		.amdhsa_system_sgpr_workgroup_id_y 0
		.amdhsa_system_sgpr_workgroup_id_z 0
		.amdhsa_system_sgpr_workgroup_info 0
		.amdhsa_system_vgpr_workitem_id 0
		.amdhsa_next_free_vgpr 10
		.amdhsa_next_free_sgpr 5
		.amdhsa_named_barrier_count 0
		.amdhsa_reserve_vcc 0
		.amdhsa_float_round_mode_32 0
		.amdhsa_float_round_mode_16_64 0
		.amdhsa_float_denorm_mode_32 3
		.amdhsa_float_denorm_mode_16_64 3
		.amdhsa_fp16_overflow 0
		.amdhsa_memory_ordered 1
		.amdhsa_forward_progress 1
		.amdhsa_inst_pref_size 2
		.amdhsa_round_robin_scheduling 0
		.amdhsa_exception_fp_ieee_invalid_op 0
		.amdhsa_exception_fp_denorm_src 0
		.amdhsa_exception_fp_ieee_div_zero 0
		.amdhsa_exception_fp_ieee_overflow 0
		.amdhsa_exception_fp_ieee_underflow 0
		.amdhsa_exception_fp_ieee_inexact 0
		.amdhsa_exception_int_div_zero 0
	.end_amdhsa_kernel
	.section	.text._Z17warp_store_kernelILj256ELj8ELj32ELN6hipcub18WarpStoreAlgorithmE0EiEvPT3_,"axG",@progbits,_Z17warp_store_kernelILj256ELj8ELj32ELN6hipcub18WarpStoreAlgorithmE0EiEvPT3_,comdat
.Lfunc_end4:
	.size	_Z17warp_store_kernelILj256ELj8ELj32ELN6hipcub18WarpStoreAlgorithmE0EiEvPT3_, .Lfunc_end4-_Z17warp_store_kernelILj256ELj8ELj32ELN6hipcub18WarpStoreAlgorithmE0EiEvPT3_
                                        ; -- End function
	.set _Z17warp_store_kernelILj256ELj8ELj32ELN6hipcub18WarpStoreAlgorithmE0EiEvPT3_.num_vgpr, 10
	.set _Z17warp_store_kernelILj256ELj8ELj32ELN6hipcub18WarpStoreAlgorithmE0EiEvPT3_.num_agpr, 0
	.set _Z17warp_store_kernelILj256ELj8ELj32ELN6hipcub18WarpStoreAlgorithmE0EiEvPT3_.numbered_sgpr, 5
	.set _Z17warp_store_kernelILj256ELj8ELj32ELN6hipcub18WarpStoreAlgorithmE0EiEvPT3_.num_named_barrier, 0
	.set _Z17warp_store_kernelILj256ELj8ELj32ELN6hipcub18WarpStoreAlgorithmE0EiEvPT3_.private_seg_size, 0
	.set _Z17warp_store_kernelILj256ELj8ELj32ELN6hipcub18WarpStoreAlgorithmE0EiEvPT3_.uses_vcc, 0
	.set _Z17warp_store_kernelILj256ELj8ELj32ELN6hipcub18WarpStoreAlgorithmE0EiEvPT3_.uses_flat_scratch, 0
	.set _Z17warp_store_kernelILj256ELj8ELj32ELN6hipcub18WarpStoreAlgorithmE0EiEvPT3_.has_dyn_sized_stack, 0
	.set _Z17warp_store_kernelILj256ELj8ELj32ELN6hipcub18WarpStoreAlgorithmE0EiEvPT3_.has_recursion, 0
	.set _Z17warp_store_kernelILj256ELj8ELj32ELN6hipcub18WarpStoreAlgorithmE0EiEvPT3_.has_indirect_call, 0
	.section	.AMDGPU.csdata,"",@progbits
; Kernel info:
; codeLenInByte = 172
; TotalNumSgprs: 5
; NumVgprs: 10
; ScratchSize: 0
; MemoryBound: 0
; FloatMode: 240
; IeeeMode: 1
; LDSByteSize: 0 bytes/workgroup (compile time only)
; SGPRBlocks: 0
; VGPRBlocks: 0
; NumSGPRsForWavesPerEU: 5
; NumVGPRsForWavesPerEU: 10
; NamedBarCnt: 0
; Occupancy: 16
; WaveLimiterHint : 0
; COMPUTE_PGM_RSRC2:SCRATCH_EN: 0
; COMPUTE_PGM_RSRC2:USER_SGPR: 2
; COMPUTE_PGM_RSRC2:TRAP_HANDLER: 0
; COMPUTE_PGM_RSRC2:TGID_X_EN: 1
; COMPUTE_PGM_RSRC2:TGID_Y_EN: 0
; COMPUTE_PGM_RSRC2:TGID_Z_EN: 0
; COMPUTE_PGM_RSRC2:TIDIG_COMP_CNT: 0
	.section	.text._Z17warp_store_kernelILj256ELj8ELj32ELN6hipcub18WarpStoreAlgorithmE1EiEvPT3_,"axG",@progbits,_Z17warp_store_kernelILj256ELj8ELj32ELN6hipcub18WarpStoreAlgorithmE1EiEvPT3_,comdat
	.protected	_Z17warp_store_kernelILj256ELj8ELj32ELN6hipcub18WarpStoreAlgorithmE1EiEvPT3_ ; -- Begin function _Z17warp_store_kernelILj256ELj8ELj32ELN6hipcub18WarpStoreAlgorithmE1EiEvPT3_
	.globl	_Z17warp_store_kernelILj256ELj8ELj32ELN6hipcub18WarpStoreAlgorithmE1EiEvPT3_
	.p2align	8
	.type	_Z17warp_store_kernelILj256ELj8ELj32ELN6hipcub18WarpStoreAlgorithmE1EiEvPT3_,@function
_Z17warp_store_kernelILj256ELj8ELj32ELN6hipcub18WarpStoreAlgorithmE1EiEvPT3_: ; @_Z17warp_store_kernelILj256ELj8ELj32ELN6hipcub18WarpStoreAlgorithmE1EiEvPT3_
; %bb.0:
	s_load_b64 s[0:1], s[0:1], 0x0
	s_bfe_u32 s2, ttmp6, 0x4000c
	s_and_b32 s3, ttmp6, 15
	s_add_co_i32 s2, s2, 1
	s_getreg_b32 s4, hwreg(HW_REG_IB_STS2, 6, 4)
	s_mul_i32 s2, ttmp9, s2
	v_dual_mov_b32 v1, 0 :: v_dual_lshlrev_b32 v0, 3, v0
	s_add_co_i32 s3, s3, s2
	s_cmp_eq_u32 s4, 0
	v_mbcnt_lo_u32_b32 v4, -1, 0
	s_cselect_b32 s2, ttmp9, s3
	v_dual_mov_b32 v6, 4 :: v_dual_mov_b32 v7, 5
	s_lshl_b32 s2, s2, 11
	v_dual_mov_b32 v8, 6 :: v_dual_mov_b32 v9, 7
	v_and_or_b32 v0, 0x700, v0, s2
	v_mov_b32_e32 v5, 1
	s_wait_kmcnt 0x0
	s_delay_alu instid0(VALU_DEP_2) | instskip(SKIP_1) | instid1(VALU_DEP_1)
	v_lshl_add_u64 v[2:3], v[0:1], 2, s[0:1]
	v_dual_lshlrev_b32 v0, 2, v4 :: v_dual_mov_b32 v4, 3
	v_add_nc_u64_e32 v[2:3], v[2:3], v[0:1]
	v_mov_b32_e32 v0, 2
	s_clause 0x7
	global_store_b32 v[2:3], v1, off
	global_store_b32 v[2:3], v5, off offset:128
	global_store_b32 v[2:3], v0, off offset:256
	;; [unrolled: 1-line block ×7, first 2 shown]
	s_endpgm
	.section	.rodata,"a",@progbits
	.p2align	6, 0x0
	.amdhsa_kernel _Z17warp_store_kernelILj256ELj8ELj32ELN6hipcub18WarpStoreAlgorithmE1EiEvPT3_
		.amdhsa_group_segment_fixed_size 0
		.amdhsa_private_segment_fixed_size 0
		.amdhsa_kernarg_size 8
		.amdhsa_user_sgpr_count 2
		.amdhsa_user_sgpr_dispatch_ptr 0
		.amdhsa_user_sgpr_queue_ptr 0
		.amdhsa_user_sgpr_kernarg_segment_ptr 1
		.amdhsa_user_sgpr_dispatch_id 0
		.amdhsa_user_sgpr_kernarg_preload_length 0
		.amdhsa_user_sgpr_kernarg_preload_offset 0
		.amdhsa_user_sgpr_private_segment_size 0
		.amdhsa_wavefront_size32 1
		.amdhsa_uses_dynamic_stack 0
		.amdhsa_enable_private_segment 0
		.amdhsa_system_sgpr_workgroup_id_x 1
		.amdhsa_system_sgpr_workgroup_id_y 0
		.amdhsa_system_sgpr_workgroup_id_z 0
		.amdhsa_system_sgpr_workgroup_info 0
		.amdhsa_system_vgpr_workitem_id 0
		.amdhsa_next_free_vgpr 10
		.amdhsa_next_free_sgpr 5
		.amdhsa_named_barrier_count 0
		.amdhsa_reserve_vcc 0
		.amdhsa_float_round_mode_32 0
		.amdhsa_float_round_mode_16_64 0
		.amdhsa_float_denorm_mode_32 3
		.amdhsa_float_denorm_mode_16_64 3
		.amdhsa_fp16_overflow 0
		.amdhsa_memory_ordered 1
		.amdhsa_forward_progress 1
		.amdhsa_inst_pref_size 2
		.amdhsa_round_robin_scheduling 0
		.amdhsa_exception_fp_ieee_invalid_op 0
		.amdhsa_exception_fp_denorm_src 0
		.amdhsa_exception_fp_ieee_div_zero 0
		.amdhsa_exception_fp_ieee_overflow 0
		.amdhsa_exception_fp_ieee_underflow 0
		.amdhsa_exception_fp_ieee_inexact 0
		.amdhsa_exception_int_div_zero 0
	.end_amdhsa_kernel
	.section	.text._Z17warp_store_kernelILj256ELj8ELj32ELN6hipcub18WarpStoreAlgorithmE1EiEvPT3_,"axG",@progbits,_Z17warp_store_kernelILj256ELj8ELj32ELN6hipcub18WarpStoreAlgorithmE1EiEvPT3_,comdat
.Lfunc_end5:
	.size	_Z17warp_store_kernelILj256ELj8ELj32ELN6hipcub18WarpStoreAlgorithmE1EiEvPT3_, .Lfunc_end5-_Z17warp_store_kernelILj256ELj8ELj32ELN6hipcub18WarpStoreAlgorithmE1EiEvPT3_
                                        ; -- End function
	.set _Z17warp_store_kernelILj256ELj8ELj32ELN6hipcub18WarpStoreAlgorithmE1EiEvPT3_.num_vgpr, 10
	.set _Z17warp_store_kernelILj256ELj8ELj32ELN6hipcub18WarpStoreAlgorithmE1EiEvPT3_.num_agpr, 0
	.set _Z17warp_store_kernelILj256ELj8ELj32ELN6hipcub18WarpStoreAlgorithmE1EiEvPT3_.numbered_sgpr, 5
	.set _Z17warp_store_kernelILj256ELj8ELj32ELN6hipcub18WarpStoreAlgorithmE1EiEvPT3_.num_named_barrier, 0
	.set _Z17warp_store_kernelILj256ELj8ELj32ELN6hipcub18WarpStoreAlgorithmE1EiEvPT3_.private_seg_size, 0
	.set _Z17warp_store_kernelILj256ELj8ELj32ELN6hipcub18WarpStoreAlgorithmE1EiEvPT3_.uses_vcc, 0
	.set _Z17warp_store_kernelILj256ELj8ELj32ELN6hipcub18WarpStoreAlgorithmE1EiEvPT3_.uses_flat_scratch, 0
	.set _Z17warp_store_kernelILj256ELj8ELj32ELN6hipcub18WarpStoreAlgorithmE1EiEvPT3_.has_dyn_sized_stack, 0
	.set _Z17warp_store_kernelILj256ELj8ELj32ELN6hipcub18WarpStoreAlgorithmE1EiEvPT3_.has_recursion, 0
	.set _Z17warp_store_kernelILj256ELj8ELj32ELN6hipcub18WarpStoreAlgorithmE1EiEvPT3_.has_indirect_call, 0
	.section	.AMDGPU.csdata,"",@progbits
; Kernel info:
; codeLenInByte = 236
; TotalNumSgprs: 5
; NumVgprs: 10
; ScratchSize: 0
; MemoryBound: 0
; FloatMode: 240
; IeeeMode: 1
; LDSByteSize: 0 bytes/workgroup (compile time only)
; SGPRBlocks: 0
; VGPRBlocks: 0
; NumSGPRsForWavesPerEU: 5
; NumVGPRsForWavesPerEU: 10
; NamedBarCnt: 0
; Occupancy: 16
; WaveLimiterHint : 1
; COMPUTE_PGM_RSRC2:SCRATCH_EN: 0
; COMPUTE_PGM_RSRC2:USER_SGPR: 2
; COMPUTE_PGM_RSRC2:TRAP_HANDLER: 0
; COMPUTE_PGM_RSRC2:TGID_X_EN: 1
; COMPUTE_PGM_RSRC2:TGID_Y_EN: 0
; COMPUTE_PGM_RSRC2:TGID_Z_EN: 0
; COMPUTE_PGM_RSRC2:TIDIG_COMP_CNT: 0
	.section	.text._Z17warp_store_kernelILj256ELj8ELj32ELN6hipcub18WarpStoreAlgorithmE2EiEvPT3_,"axG",@progbits,_Z17warp_store_kernelILj256ELj8ELj32ELN6hipcub18WarpStoreAlgorithmE2EiEvPT3_,comdat
	.protected	_Z17warp_store_kernelILj256ELj8ELj32ELN6hipcub18WarpStoreAlgorithmE2EiEvPT3_ ; -- Begin function _Z17warp_store_kernelILj256ELj8ELj32ELN6hipcub18WarpStoreAlgorithmE2EiEvPT3_
	.globl	_Z17warp_store_kernelILj256ELj8ELj32ELN6hipcub18WarpStoreAlgorithmE2EiEvPT3_
	.p2align	8
	.type	_Z17warp_store_kernelILj256ELj8ELj32ELN6hipcub18WarpStoreAlgorithmE2EiEvPT3_,@function
_Z17warp_store_kernelILj256ELj8ELj32ELN6hipcub18WarpStoreAlgorithmE2EiEvPT3_: ; @_Z17warp_store_kernelILj256ELj8ELj32ELN6hipcub18WarpStoreAlgorithmE2EiEvPT3_
; %bb.0:
	s_load_b64 s[0:1], s[0:1], 0x0
	s_bfe_u32 s2, ttmp6, 0x4000c
	s_and_b32 s3, ttmp6, 15
	s_add_co_i32 s2, s2, 1
	s_getreg_b32 s4, hwreg(HW_REG_IB_STS2, 6, 4)
	s_mul_i32 s2, ttmp9, s2
	v_dual_mov_b32 v7, 0 :: v_dual_lshlrev_b32 v0, 3, v0
	s_add_co_i32 s3, s3, s2
	s_cmp_eq_u32 s4, 0
	v_dual_mov_b32 v2, 2 :: v_dual_mov_b32 v3, 3
	s_cselect_b32 s2, ttmp9, s3
	v_dual_mov_b32 v4, 4 :: v_dual_mov_b32 v5, 5
	s_lshl_b32 s2, s2, 11
	s_delay_alu instid0(SALU_CYCLE_1) | instskip(SKIP_3) | instid1(VALU_DEP_3)
	v_and_or_b32 v6, 0x700, v0, s2
	v_mbcnt_lo_u32_b32 v0, -1, 0
	v_mov_b32_e32 v1, 1
	s_wait_kmcnt 0x0
	v_lshl_add_u64 v[8:9], v[6:7], 2, s[0:1]
	s_delay_alu instid0(VALU_DEP_3) | instskip(NEXT) | instid1(VALU_DEP_1)
	v_dual_lshlrev_b32 v6, 5, v0 :: v_dual_mov_b32 v0, v7
	v_add_nc_u64_e32 v[8:9], v[8:9], v[6:7]
	v_dual_mov_b32 v6, 6 :: v_dual_mov_b32 v7, 7
	s_clause 0x1
	global_store_b128 v[8:9], v[0:3], off
	global_store_b128 v[8:9], v[4:7], off offset:16
	s_endpgm
	.section	.rodata,"a",@progbits
	.p2align	6, 0x0
	.amdhsa_kernel _Z17warp_store_kernelILj256ELj8ELj32ELN6hipcub18WarpStoreAlgorithmE2EiEvPT3_
		.amdhsa_group_segment_fixed_size 0
		.amdhsa_private_segment_fixed_size 0
		.amdhsa_kernarg_size 8
		.amdhsa_user_sgpr_count 2
		.amdhsa_user_sgpr_dispatch_ptr 0
		.amdhsa_user_sgpr_queue_ptr 0
		.amdhsa_user_sgpr_kernarg_segment_ptr 1
		.amdhsa_user_sgpr_dispatch_id 0
		.amdhsa_user_sgpr_kernarg_preload_length 0
		.amdhsa_user_sgpr_kernarg_preload_offset 0
		.amdhsa_user_sgpr_private_segment_size 0
		.amdhsa_wavefront_size32 1
		.amdhsa_uses_dynamic_stack 0
		.amdhsa_enable_private_segment 0
		.amdhsa_system_sgpr_workgroup_id_x 1
		.amdhsa_system_sgpr_workgroup_id_y 0
		.amdhsa_system_sgpr_workgroup_id_z 0
		.amdhsa_system_sgpr_workgroup_info 0
		.amdhsa_system_vgpr_workitem_id 0
		.amdhsa_next_free_vgpr 10
		.amdhsa_next_free_sgpr 5
		.amdhsa_named_barrier_count 0
		.amdhsa_reserve_vcc 0
		.amdhsa_float_round_mode_32 0
		.amdhsa_float_round_mode_16_64 0
		.amdhsa_float_denorm_mode_32 3
		.amdhsa_float_denorm_mode_16_64 3
		.amdhsa_fp16_overflow 0
		.amdhsa_memory_ordered 1
		.amdhsa_forward_progress 1
		.amdhsa_inst_pref_size 2
		.amdhsa_round_robin_scheduling 0
		.amdhsa_exception_fp_ieee_invalid_op 0
		.amdhsa_exception_fp_denorm_src 0
		.amdhsa_exception_fp_ieee_div_zero 0
		.amdhsa_exception_fp_ieee_overflow 0
		.amdhsa_exception_fp_ieee_underflow 0
		.amdhsa_exception_fp_ieee_inexact 0
		.amdhsa_exception_int_div_zero 0
	.end_amdhsa_kernel
	.section	.text._Z17warp_store_kernelILj256ELj8ELj32ELN6hipcub18WarpStoreAlgorithmE2EiEvPT3_,"axG",@progbits,_Z17warp_store_kernelILj256ELj8ELj32ELN6hipcub18WarpStoreAlgorithmE2EiEvPT3_,comdat
.Lfunc_end6:
	.size	_Z17warp_store_kernelILj256ELj8ELj32ELN6hipcub18WarpStoreAlgorithmE2EiEvPT3_, .Lfunc_end6-_Z17warp_store_kernelILj256ELj8ELj32ELN6hipcub18WarpStoreAlgorithmE2EiEvPT3_
                                        ; -- End function
	.set _Z17warp_store_kernelILj256ELj8ELj32ELN6hipcub18WarpStoreAlgorithmE2EiEvPT3_.num_vgpr, 10
	.set _Z17warp_store_kernelILj256ELj8ELj32ELN6hipcub18WarpStoreAlgorithmE2EiEvPT3_.num_agpr, 0
	.set _Z17warp_store_kernelILj256ELj8ELj32ELN6hipcub18WarpStoreAlgorithmE2EiEvPT3_.numbered_sgpr, 5
	.set _Z17warp_store_kernelILj256ELj8ELj32ELN6hipcub18WarpStoreAlgorithmE2EiEvPT3_.num_named_barrier, 0
	.set _Z17warp_store_kernelILj256ELj8ELj32ELN6hipcub18WarpStoreAlgorithmE2EiEvPT3_.private_seg_size, 0
	.set _Z17warp_store_kernelILj256ELj8ELj32ELN6hipcub18WarpStoreAlgorithmE2EiEvPT3_.uses_vcc, 0
	.set _Z17warp_store_kernelILj256ELj8ELj32ELN6hipcub18WarpStoreAlgorithmE2EiEvPT3_.uses_flat_scratch, 0
	.set _Z17warp_store_kernelILj256ELj8ELj32ELN6hipcub18WarpStoreAlgorithmE2EiEvPT3_.has_dyn_sized_stack, 0
	.set _Z17warp_store_kernelILj256ELj8ELj32ELN6hipcub18WarpStoreAlgorithmE2EiEvPT3_.has_recursion, 0
	.set _Z17warp_store_kernelILj256ELj8ELj32ELN6hipcub18WarpStoreAlgorithmE2EiEvPT3_.has_indirect_call, 0
	.section	.AMDGPU.csdata,"",@progbits
; Kernel info:
; codeLenInByte = 172
; TotalNumSgprs: 5
; NumVgprs: 10
; ScratchSize: 0
; MemoryBound: 0
; FloatMode: 240
; IeeeMode: 1
; LDSByteSize: 0 bytes/workgroup (compile time only)
; SGPRBlocks: 0
; VGPRBlocks: 0
; NumSGPRsForWavesPerEU: 5
; NumVGPRsForWavesPerEU: 10
; NamedBarCnt: 0
; Occupancy: 16
; WaveLimiterHint : 0
; COMPUTE_PGM_RSRC2:SCRATCH_EN: 0
; COMPUTE_PGM_RSRC2:USER_SGPR: 2
; COMPUTE_PGM_RSRC2:TRAP_HANDLER: 0
; COMPUTE_PGM_RSRC2:TGID_X_EN: 1
; COMPUTE_PGM_RSRC2:TGID_Y_EN: 0
; COMPUTE_PGM_RSRC2:TGID_Z_EN: 0
; COMPUTE_PGM_RSRC2:TIDIG_COMP_CNT: 0
	.section	.text._Z17warp_store_kernelILj256ELj8ELj32ELN6hipcub18WarpStoreAlgorithmE3EiEvPT3_,"axG",@progbits,_Z17warp_store_kernelILj256ELj8ELj32ELN6hipcub18WarpStoreAlgorithmE3EiEvPT3_,comdat
	.protected	_Z17warp_store_kernelILj256ELj8ELj32ELN6hipcub18WarpStoreAlgorithmE3EiEvPT3_ ; -- Begin function _Z17warp_store_kernelILj256ELj8ELj32ELN6hipcub18WarpStoreAlgorithmE3EiEvPT3_
	.globl	_Z17warp_store_kernelILj256ELj8ELj32ELN6hipcub18WarpStoreAlgorithmE3EiEvPT3_
	.p2align	8
	.type	_Z17warp_store_kernelILj256ELj8ELj32ELN6hipcub18WarpStoreAlgorithmE3EiEvPT3_,@function
_Z17warp_store_kernelILj256ELj8ELj32ELN6hipcub18WarpStoreAlgorithmE3EiEvPT3_: ; @_Z17warp_store_kernelILj256ELj8ELj32ELN6hipcub18WarpStoreAlgorithmE3EiEvPT3_
; %bb.0:
	v_mbcnt_lo_u32_b32 v12, -1, 0
	v_dual_mov_b32 v9, 0 :: v_dual_lshrrev_b32 v8, 5, v0
	s_load_b64 s[0:1], s[0:1], 0x0
	s_bfe_u32 s2, ttmp6, 0x4000c
	s_delay_alu instid0(VALU_DEP_2) | instskip(SKIP_3) | instid1(VALU_DEP_1)
	v_dual_mov_b32 v1, 1 :: v_dual_lshlrev_b32 v0, 5, v12
	s_add_co_i32 s2, s2, 1
	s_and_b32 s3, ttmp6, 15
	s_mul_i32 s2, ttmp9, s2
	v_lshl_or_b32 v10, v8, 10, v0
	s_add_co_i32 s3, s3, s2
	s_getreg_b32 s2, hwreg(HW_REG_IB_STS2, 6, 4)
	v_dual_mov_b32 v2, 2 :: v_dual_mov_b32 v3, 3
	v_dual_mov_b32 v0, v9 :: v_dual_mov_b32 v4, 4
	v_mad_i32_i24 v11, 0xffffffe4, v12, v10
	v_dual_mov_b32 v5, 5 :: v_dual_mov_b32 v6, 6
	v_mov_b32_e32 v7, 7
	s_cmp_eq_u32 s2, 0
	ds_store_b128 v10, v[0:3]
	ds_store_b128 v10, v[4:7] offset:16
	s_cselect_b32 s2, ttmp9, s3
	; wave barrier
	ds_load_2addr_b32 v[0:1], v11 offset1:32
	ds_load_2addr_b32 v[2:3], v11 offset0:64 offset1:96
	ds_load_2addr_b32 v[4:5], v11 offset0:128 offset1:160
	;; [unrolled: 1-line block ×3, first 2 shown]
	s_lshl_b32 s2, s2, 11
	s_delay_alu instid0(SALU_CYCLE_1) | instskip(SKIP_1) | instid1(VALU_DEP_1)
	v_lshl_or_b32 v8, v8, 8, s2
	s_wait_kmcnt 0x0
	v_lshl_add_u64 v[10:11], v[8:9], 2, s[0:1]
	v_lshlrev_b32_e32 v8, 2, v12
	s_delay_alu instid0(VALU_DEP_1)
	v_add_nc_u64_e32 v[8:9], v[10:11], v[8:9]
	s_wait_dscnt 0x3
	s_clause 0x1
	global_store_b32 v[8:9], v0, off
	global_store_b32 v[8:9], v1, off offset:128
	s_wait_dscnt 0x2
	s_clause 0x1
	global_store_b32 v[8:9], v2, off offset:256
	global_store_b32 v[8:9], v3, off offset:384
	s_wait_dscnt 0x1
	s_clause 0x1
	global_store_b32 v[8:9], v4, off offset:512
	global_store_b32 v[8:9], v5, off offset:640
	s_wait_dscnt 0x0
	s_clause 0x1
	global_store_b32 v[8:9], v6, off offset:768
	global_store_b32 v[8:9], v7, off offset:896
	s_endpgm
	.section	.rodata,"a",@progbits
	.p2align	6, 0x0
	.amdhsa_kernel _Z17warp_store_kernelILj256ELj8ELj32ELN6hipcub18WarpStoreAlgorithmE3EiEvPT3_
		.amdhsa_group_segment_fixed_size 8192
		.amdhsa_private_segment_fixed_size 0
		.amdhsa_kernarg_size 8
		.amdhsa_user_sgpr_count 2
		.amdhsa_user_sgpr_dispatch_ptr 0
		.amdhsa_user_sgpr_queue_ptr 0
		.amdhsa_user_sgpr_kernarg_segment_ptr 1
		.amdhsa_user_sgpr_dispatch_id 0
		.amdhsa_user_sgpr_kernarg_preload_length 0
		.amdhsa_user_sgpr_kernarg_preload_offset 0
		.amdhsa_user_sgpr_private_segment_size 0
		.amdhsa_wavefront_size32 1
		.amdhsa_uses_dynamic_stack 0
		.amdhsa_enable_private_segment 0
		.amdhsa_system_sgpr_workgroup_id_x 1
		.amdhsa_system_sgpr_workgroup_id_y 0
		.amdhsa_system_sgpr_workgroup_id_z 0
		.amdhsa_system_sgpr_workgroup_info 0
		.amdhsa_system_vgpr_workitem_id 0
		.amdhsa_next_free_vgpr 13
		.amdhsa_next_free_sgpr 4
		.amdhsa_named_barrier_count 0
		.amdhsa_reserve_vcc 0
		.amdhsa_float_round_mode_32 0
		.amdhsa_float_round_mode_16_64 0
		.amdhsa_float_denorm_mode_32 3
		.amdhsa_float_denorm_mode_16_64 3
		.amdhsa_fp16_overflow 0
		.amdhsa_memory_ordered 1
		.amdhsa_forward_progress 1
		.amdhsa_inst_pref_size 3
		.amdhsa_round_robin_scheduling 0
		.amdhsa_exception_fp_ieee_invalid_op 0
		.amdhsa_exception_fp_denorm_src 0
		.amdhsa_exception_fp_ieee_div_zero 0
		.amdhsa_exception_fp_ieee_overflow 0
		.amdhsa_exception_fp_ieee_underflow 0
		.amdhsa_exception_fp_ieee_inexact 0
		.amdhsa_exception_int_div_zero 0
	.end_amdhsa_kernel
	.section	.text._Z17warp_store_kernelILj256ELj8ELj32ELN6hipcub18WarpStoreAlgorithmE3EiEvPT3_,"axG",@progbits,_Z17warp_store_kernelILj256ELj8ELj32ELN6hipcub18WarpStoreAlgorithmE3EiEvPT3_,comdat
.Lfunc_end7:
	.size	_Z17warp_store_kernelILj256ELj8ELj32ELN6hipcub18WarpStoreAlgorithmE3EiEvPT3_, .Lfunc_end7-_Z17warp_store_kernelILj256ELj8ELj32ELN6hipcub18WarpStoreAlgorithmE3EiEvPT3_
                                        ; -- End function
	.set _Z17warp_store_kernelILj256ELj8ELj32ELN6hipcub18WarpStoreAlgorithmE3EiEvPT3_.num_vgpr, 13
	.set _Z17warp_store_kernelILj256ELj8ELj32ELN6hipcub18WarpStoreAlgorithmE3EiEvPT3_.num_agpr, 0
	.set _Z17warp_store_kernelILj256ELj8ELj32ELN6hipcub18WarpStoreAlgorithmE3EiEvPT3_.numbered_sgpr, 4
	.set _Z17warp_store_kernelILj256ELj8ELj32ELN6hipcub18WarpStoreAlgorithmE3EiEvPT3_.num_named_barrier, 0
	.set _Z17warp_store_kernelILj256ELj8ELj32ELN6hipcub18WarpStoreAlgorithmE3EiEvPT3_.private_seg_size, 0
	.set _Z17warp_store_kernelILj256ELj8ELj32ELN6hipcub18WarpStoreAlgorithmE3EiEvPT3_.uses_vcc, 0
	.set _Z17warp_store_kernelILj256ELj8ELj32ELN6hipcub18WarpStoreAlgorithmE3EiEvPT3_.uses_flat_scratch, 0
	.set _Z17warp_store_kernelILj256ELj8ELj32ELN6hipcub18WarpStoreAlgorithmE3EiEvPT3_.has_dyn_sized_stack, 0
	.set _Z17warp_store_kernelILj256ELj8ELj32ELN6hipcub18WarpStoreAlgorithmE3EiEvPT3_.has_recursion, 0
	.set _Z17warp_store_kernelILj256ELj8ELj32ELN6hipcub18WarpStoreAlgorithmE3EiEvPT3_.has_indirect_call, 0
	.section	.AMDGPU.csdata,"",@progbits
; Kernel info:
; codeLenInByte = 344
; TotalNumSgprs: 4
; NumVgprs: 13
; ScratchSize: 0
; MemoryBound: 1
; FloatMode: 240
; IeeeMode: 1
; LDSByteSize: 8192 bytes/workgroup (compile time only)
; SGPRBlocks: 0
; VGPRBlocks: 0
; NumSGPRsForWavesPerEU: 4
; NumVGPRsForWavesPerEU: 13
; NamedBarCnt: 0
; Occupancy: 16
; WaveLimiterHint : 1
; COMPUTE_PGM_RSRC2:SCRATCH_EN: 0
; COMPUTE_PGM_RSRC2:USER_SGPR: 2
; COMPUTE_PGM_RSRC2:TRAP_HANDLER: 0
; COMPUTE_PGM_RSRC2:TGID_X_EN: 1
; COMPUTE_PGM_RSRC2:TGID_Y_EN: 0
; COMPUTE_PGM_RSRC2:TGID_Z_EN: 0
; COMPUTE_PGM_RSRC2:TIDIG_COMP_CNT: 0
	.section	.text._Z17warp_store_kernelILj256ELj16ELj32ELN6hipcub18WarpStoreAlgorithmE0EiEvPT3_,"axG",@progbits,_Z17warp_store_kernelILj256ELj16ELj32ELN6hipcub18WarpStoreAlgorithmE0EiEvPT3_,comdat
	.protected	_Z17warp_store_kernelILj256ELj16ELj32ELN6hipcub18WarpStoreAlgorithmE0EiEvPT3_ ; -- Begin function _Z17warp_store_kernelILj256ELj16ELj32ELN6hipcub18WarpStoreAlgorithmE0EiEvPT3_
	.globl	_Z17warp_store_kernelILj256ELj16ELj32ELN6hipcub18WarpStoreAlgorithmE0EiEvPT3_
	.p2align	8
	.type	_Z17warp_store_kernelILj256ELj16ELj32ELN6hipcub18WarpStoreAlgorithmE0EiEvPT3_,@function
_Z17warp_store_kernelILj256ELj16ELj32ELN6hipcub18WarpStoreAlgorithmE0EiEvPT3_: ; @_Z17warp_store_kernelILj256ELj16ELj32ELN6hipcub18WarpStoreAlgorithmE0EiEvPT3_
; %bb.0:
	s_load_b64 s[0:1], s[0:1], 0x0
	s_bfe_u32 s2, ttmp6, 0x4000c
	s_and_b32 s3, ttmp6, 15
	s_add_co_i32 s2, s2, 1
	s_getreg_b32 s4, hwreg(HW_REG_IB_STS2, 6, 4)
	s_mul_i32 s2, ttmp9, s2
	v_dual_mov_b32 v11, 0 :: v_dual_lshlrev_b32 v0, 4, v0
	s_add_co_i32 s3, s3, s2
	s_cmp_eq_u32 s4, 0
	v_mbcnt_lo_u32_b32 v6, -1, 0
	s_cselect_b32 s2, ttmp9, s3
	v_mov_b32_e32 v5, 5
	s_lshl_b32 s2, s2, 12
	v_dual_mov_b32 v1, 1 :: v_dual_mov_b32 v2, 2
	v_and_or_b32 v10, 0xe00, v0, s2
	v_dual_mov_b32 v3, 3 :: v_dual_mov_b32 v4, 4
	v_dual_mov_b32 v8, 8 :: v_dual_mov_b32 v0, v11
	s_wait_kmcnt 0x0
	s_delay_alu instid0(VALU_DEP_3) | instskip(SKIP_3) | instid1(VALU_DEP_3)
	v_lshl_add_u64 v[12:13], v[10:11], 2, s[0:1]
	v_dual_lshlrev_b32 v10, 6, v6 :: v_dual_mov_b32 v6, 6
	v_dual_mov_b32 v7, 7 :: v_dual_mov_b32 v9, 9
	v_mov_b32_e32 v14, 14
	v_add_nc_u64_e32 v[16:17], v[12:13], v[10:11]
	v_dual_mov_b32 v10, 10 :: v_dual_mov_b32 v11, 11
	v_dual_mov_b32 v12, 12 :: v_dual_mov_b32 v13, 13
	v_mov_b32_e32 v15, 15
	s_clause 0x3
	global_store_b128 v[16:17], v[0:3], off
	global_store_b128 v[16:17], v[4:7], off offset:16
	global_store_b128 v[16:17], v[8:11], off offset:32
	;; [unrolled: 1-line block ×3, first 2 shown]
	s_endpgm
	.section	.rodata,"a",@progbits
	.p2align	6, 0x0
	.amdhsa_kernel _Z17warp_store_kernelILj256ELj16ELj32ELN6hipcub18WarpStoreAlgorithmE0EiEvPT3_
		.amdhsa_group_segment_fixed_size 0
		.amdhsa_private_segment_fixed_size 0
		.amdhsa_kernarg_size 8
		.amdhsa_user_sgpr_count 2
		.amdhsa_user_sgpr_dispatch_ptr 0
		.amdhsa_user_sgpr_queue_ptr 0
		.amdhsa_user_sgpr_kernarg_segment_ptr 1
		.amdhsa_user_sgpr_dispatch_id 0
		.amdhsa_user_sgpr_kernarg_preload_length 0
		.amdhsa_user_sgpr_kernarg_preload_offset 0
		.amdhsa_user_sgpr_private_segment_size 0
		.amdhsa_wavefront_size32 1
		.amdhsa_uses_dynamic_stack 0
		.amdhsa_enable_private_segment 0
		.amdhsa_system_sgpr_workgroup_id_x 1
		.amdhsa_system_sgpr_workgroup_id_y 0
		.amdhsa_system_sgpr_workgroup_id_z 0
		.amdhsa_system_sgpr_workgroup_info 0
		.amdhsa_system_vgpr_workitem_id 0
		.amdhsa_next_free_vgpr 18
		.amdhsa_next_free_sgpr 5
		.amdhsa_named_barrier_count 0
		.amdhsa_reserve_vcc 0
		.amdhsa_float_round_mode_32 0
		.amdhsa_float_round_mode_16_64 0
		.amdhsa_float_denorm_mode_32 3
		.amdhsa_float_denorm_mode_16_64 3
		.amdhsa_fp16_overflow 0
		.amdhsa_memory_ordered 1
		.amdhsa_forward_progress 1
		.amdhsa_inst_pref_size 2
		.amdhsa_round_robin_scheduling 0
		.amdhsa_exception_fp_ieee_invalid_op 0
		.amdhsa_exception_fp_denorm_src 0
		.amdhsa_exception_fp_ieee_div_zero 0
		.amdhsa_exception_fp_ieee_overflow 0
		.amdhsa_exception_fp_ieee_underflow 0
		.amdhsa_exception_fp_ieee_inexact 0
		.amdhsa_exception_int_div_zero 0
	.end_amdhsa_kernel
	.section	.text._Z17warp_store_kernelILj256ELj16ELj32ELN6hipcub18WarpStoreAlgorithmE0EiEvPT3_,"axG",@progbits,_Z17warp_store_kernelILj256ELj16ELj32ELN6hipcub18WarpStoreAlgorithmE0EiEvPT3_,comdat
.Lfunc_end8:
	.size	_Z17warp_store_kernelILj256ELj16ELj32ELN6hipcub18WarpStoreAlgorithmE0EiEvPT3_, .Lfunc_end8-_Z17warp_store_kernelILj256ELj16ELj32ELN6hipcub18WarpStoreAlgorithmE0EiEvPT3_
                                        ; -- End function
	.set _Z17warp_store_kernelILj256ELj16ELj32ELN6hipcub18WarpStoreAlgorithmE0EiEvPT3_.num_vgpr, 18
	.set _Z17warp_store_kernelILj256ELj16ELj32ELN6hipcub18WarpStoreAlgorithmE0EiEvPT3_.num_agpr, 0
	.set _Z17warp_store_kernelILj256ELj16ELj32ELN6hipcub18WarpStoreAlgorithmE0EiEvPT3_.numbered_sgpr, 5
	.set _Z17warp_store_kernelILj256ELj16ELj32ELN6hipcub18WarpStoreAlgorithmE0EiEvPT3_.num_named_barrier, 0
	.set _Z17warp_store_kernelILj256ELj16ELj32ELN6hipcub18WarpStoreAlgorithmE0EiEvPT3_.private_seg_size, 0
	.set _Z17warp_store_kernelILj256ELj16ELj32ELN6hipcub18WarpStoreAlgorithmE0EiEvPT3_.uses_vcc, 0
	.set _Z17warp_store_kernelILj256ELj16ELj32ELN6hipcub18WarpStoreAlgorithmE0EiEvPT3_.uses_flat_scratch, 0
	.set _Z17warp_store_kernelILj256ELj16ELj32ELN6hipcub18WarpStoreAlgorithmE0EiEvPT3_.has_dyn_sized_stack, 0
	.set _Z17warp_store_kernelILj256ELj16ELj32ELN6hipcub18WarpStoreAlgorithmE0EiEvPT3_.has_recursion, 0
	.set _Z17warp_store_kernelILj256ELj16ELj32ELN6hipcub18WarpStoreAlgorithmE0EiEvPT3_.has_indirect_call, 0
	.section	.AMDGPU.csdata,"",@progbits
; Kernel info:
; codeLenInByte = 232
; TotalNumSgprs: 5
; NumVgprs: 18
; ScratchSize: 0
; MemoryBound: 1
; FloatMode: 240
; IeeeMode: 1
; LDSByteSize: 0 bytes/workgroup (compile time only)
; SGPRBlocks: 0
; VGPRBlocks: 1
; NumSGPRsForWavesPerEU: 5
; NumVGPRsForWavesPerEU: 18
; NamedBarCnt: 0
; Occupancy: 16
; WaveLimiterHint : 1
; COMPUTE_PGM_RSRC2:SCRATCH_EN: 0
; COMPUTE_PGM_RSRC2:USER_SGPR: 2
; COMPUTE_PGM_RSRC2:TRAP_HANDLER: 0
; COMPUTE_PGM_RSRC2:TGID_X_EN: 1
; COMPUTE_PGM_RSRC2:TGID_Y_EN: 0
; COMPUTE_PGM_RSRC2:TGID_Z_EN: 0
; COMPUTE_PGM_RSRC2:TIDIG_COMP_CNT: 0
	.section	.text._Z17warp_store_kernelILj256ELj16ELj32ELN6hipcub18WarpStoreAlgorithmE1EiEvPT3_,"axG",@progbits,_Z17warp_store_kernelILj256ELj16ELj32ELN6hipcub18WarpStoreAlgorithmE1EiEvPT3_,comdat
	.protected	_Z17warp_store_kernelILj256ELj16ELj32ELN6hipcub18WarpStoreAlgorithmE1EiEvPT3_ ; -- Begin function _Z17warp_store_kernelILj256ELj16ELj32ELN6hipcub18WarpStoreAlgorithmE1EiEvPT3_
	.globl	_Z17warp_store_kernelILj256ELj16ELj32ELN6hipcub18WarpStoreAlgorithmE1EiEvPT3_
	.p2align	8
	.type	_Z17warp_store_kernelILj256ELj16ELj32ELN6hipcub18WarpStoreAlgorithmE1EiEvPT3_,@function
_Z17warp_store_kernelILj256ELj16ELj32ELN6hipcub18WarpStoreAlgorithmE1EiEvPT3_: ; @_Z17warp_store_kernelILj256ELj16ELj32ELN6hipcub18WarpStoreAlgorithmE1EiEvPT3_
; %bb.0:
	s_load_b64 s[0:1], s[0:1], 0x0
	s_bfe_u32 s2, ttmp6, 0x4000c
	s_and_b32 s3, ttmp6, 15
	s_add_co_i32 s2, s2, 1
	s_getreg_b32 s4, hwreg(HW_REG_IB_STS2, 6, 4)
	s_mul_i32 s2, ttmp9, s2
	v_dual_mov_b32 v1, 0 :: v_dual_lshlrev_b32 v0, 4, v0
	s_add_co_i32 s3, s3, s2
	s_cmp_eq_u32 s4, 0
	v_mbcnt_lo_u32_b32 v4, -1, 0
	s_cselect_b32 s2, ttmp9, s3
	v_mov_b32_e32 v5, 2
	s_lshl_b32 s2, s2, 12
	v_dual_mov_b32 v6, 3 :: v_dual_mov_b32 v7, 5
	v_and_or_b32 v0, 0xe00, v0, s2
	v_dual_mov_b32 v10, 8 :: v_dual_mov_b32 v8, 6
	v_mov_b32_e32 v9, 7
	s_wait_kmcnt 0x0
	s_delay_alu instid0(VALU_DEP_3) | instskip(SKIP_1) | instid1(VALU_DEP_1)
	v_lshl_add_u64 v[2:3], v[0:1], 2, s[0:1]
	v_dual_lshlrev_b32 v0, 2, v4 :: v_dual_mov_b32 v4, 4
	v_add_nc_u64_e32 v[2:3], v[2:3], v[0:1]
	v_mov_b32_e32 v0, 1
	s_clause 0x7
	global_store_b32 v[2:3], v1, off
	global_store_b32 v[2:3], v0, off offset:128
	global_store_b32 v[2:3], v5, off offset:256
	global_store_b32 v[2:3], v6, off offset:384
	global_store_b32 v[2:3], v4, off offset:512
	global_store_b32 v[2:3], v7, off offset:640
	global_store_b32 v[2:3], v8, off offset:768
	global_store_b32 v[2:3], v9, off offset:896
	s_wait_xcnt 0x6
	v_dual_mov_b32 v0, 9 :: v_dual_mov_b32 v1, 10
	s_wait_xcnt 0x3
	v_dual_mov_b32 v4, 11 :: v_dual_mov_b32 v5, 12
	;; [unrolled: 2-line block ×3, first 2 shown]
	s_wait_xcnt 0x1
	v_mov_b32_e32 v8, 15
	s_clause 0x7
	global_store_b32 v[2:3], v10, off offset:1024
	global_store_b32 v[2:3], v0, off offset:1152
	;; [unrolled: 1-line block ×8, first 2 shown]
	s_endpgm
	.section	.rodata,"a",@progbits
	.p2align	6, 0x0
	.amdhsa_kernel _Z17warp_store_kernelILj256ELj16ELj32ELN6hipcub18WarpStoreAlgorithmE1EiEvPT3_
		.amdhsa_group_segment_fixed_size 0
		.amdhsa_private_segment_fixed_size 0
		.amdhsa_kernarg_size 8
		.amdhsa_user_sgpr_count 2
		.amdhsa_user_sgpr_dispatch_ptr 0
		.amdhsa_user_sgpr_queue_ptr 0
		.amdhsa_user_sgpr_kernarg_segment_ptr 1
		.amdhsa_user_sgpr_dispatch_id 0
		.amdhsa_user_sgpr_kernarg_preload_length 0
		.amdhsa_user_sgpr_kernarg_preload_offset 0
		.amdhsa_user_sgpr_private_segment_size 0
		.amdhsa_wavefront_size32 1
		.amdhsa_uses_dynamic_stack 0
		.amdhsa_enable_private_segment 0
		.amdhsa_system_sgpr_workgroup_id_x 1
		.amdhsa_system_sgpr_workgroup_id_y 0
		.amdhsa_system_sgpr_workgroup_id_z 0
		.amdhsa_system_sgpr_workgroup_info 0
		.amdhsa_system_vgpr_workitem_id 0
		.amdhsa_next_free_vgpr 11
		.amdhsa_next_free_sgpr 5
		.amdhsa_named_barrier_count 0
		.amdhsa_reserve_vcc 0
		.amdhsa_float_round_mode_32 0
		.amdhsa_float_round_mode_16_64 0
		.amdhsa_float_denorm_mode_32 3
		.amdhsa_float_denorm_mode_16_64 3
		.amdhsa_fp16_overflow 0
		.amdhsa_memory_ordered 1
		.amdhsa_forward_progress 1
		.amdhsa_inst_pref_size 4
		.amdhsa_round_robin_scheduling 0
		.amdhsa_exception_fp_ieee_invalid_op 0
		.amdhsa_exception_fp_denorm_src 0
		.amdhsa_exception_fp_ieee_div_zero 0
		.amdhsa_exception_fp_ieee_overflow 0
		.amdhsa_exception_fp_ieee_underflow 0
		.amdhsa_exception_fp_ieee_inexact 0
		.amdhsa_exception_int_div_zero 0
	.end_amdhsa_kernel
	.section	.text._Z17warp_store_kernelILj256ELj16ELj32ELN6hipcub18WarpStoreAlgorithmE1EiEvPT3_,"axG",@progbits,_Z17warp_store_kernelILj256ELj16ELj32ELN6hipcub18WarpStoreAlgorithmE1EiEvPT3_,comdat
.Lfunc_end9:
	.size	_Z17warp_store_kernelILj256ELj16ELj32ELN6hipcub18WarpStoreAlgorithmE1EiEvPT3_, .Lfunc_end9-_Z17warp_store_kernelILj256ELj16ELj32ELN6hipcub18WarpStoreAlgorithmE1EiEvPT3_
                                        ; -- End function
	.set _Z17warp_store_kernelILj256ELj16ELj32ELN6hipcub18WarpStoreAlgorithmE1EiEvPT3_.num_vgpr, 11
	.set _Z17warp_store_kernelILj256ELj16ELj32ELN6hipcub18WarpStoreAlgorithmE1EiEvPT3_.num_agpr, 0
	.set _Z17warp_store_kernelILj256ELj16ELj32ELN6hipcub18WarpStoreAlgorithmE1EiEvPT3_.numbered_sgpr, 5
	.set _Z17warp_store_kernelILj256ELj16ELj32ELN6hipcub18WarpStoreAlgorithmE1EiEvPT3_.num_named_barrier, 0
	.set _Z17warp_store_kernelILj256ELj16ELj32ELN6hipcub18WarpStoreAlgorithmE1EiEvPT3_.private_seg_size, 0
	.set _Z17warp_store_kernelILj256ELj16ELj32ELN6hipcub18WarpStoreAlgorithmE1EiEvPT3_.uses_vcc, 0
	.set _Z17warp_store_kernelILj256ELj16ELj32ELN6hipcub18WarpStoreAlgorithmE1EiEvPT3_.uses_flat_scratch, 0
	.set _Z17warp_store_kernelILj256ELj16ELj32ELN6hipcub18WarpStoreAlgorithmE1EiEvPT3_.has_dyn_sized_stack, 0
	.set _Z17warp_store_kernelILj256ELj16ELj32ELN6hipcub18WarpStoreAlgorithmE1EiEvPT3_.has_recursion, 0
	.set _Z17warp_store_kernelILj256ELj16ELj32ELN6hipcub18WarpStoreAlgorithmE1EiEvPT3_.has_indirect_call, 0
	.section	.AMDGPU.csdata,"",@progbits
; Kernel info:
; codeLenInByte = 388
; TotalNumSgprs: 5
; NumVgprs: 11
; ScratchSize: 0
; MemoryBound: 1
; FloatMode: 240
; IeeeMode: 1
; LDSByteSize: 0 bytes/workgroup (compile time only)
; SGPRBlocks: 0
; VGPRBlocks: 0
; NumSGPRsForWavesPerEU: 5
; NumVGPRsForWavesPerEU: 11
; NamedBarCnt: 0
; Occupancy: 16
; WaveLimiterHint : 1
; COMPUTE_PGM_RSRC2:SCRATCH_EN: 0
; COMPUTE_PGM_RSRC2:USER_SGPR: 2
; COMPUTE_PGM_RSRC2:TRAP_HANDLER: 0
; COMPUTE_PGM_RSRC2:TGID_X_EN: 1
; COMPUTE_PGM_RSRC2:TGID_Y_EN: 0
; COMPUTE_PGM_RSRC2:TGID_Z_EN: 0
; COMPUTE_PGM_RSRC2:TIDIG_COMP_CNT: 0
	.section	.text._Z17warp_store_kernelILj256ELj16ELj32ELN6hipcub18WarpStoreAlgorithmE2EiEvPT3_,"axG",@progbits,_Z17warp_store_kernelILj256ELj16ELj32ELN6hipcub18WarpStoreAlgorithmE2EiEvPT3_,comdat
	.protected	_Z17warp_store_kernelILj256ELj16ELj32ELN6hipcub18WarpStoreAlgorithmE2EiEvPT3_ ; -- Begin function _Z17warp_store_kernelILj256ELj16ELj32ELN6hipcub18WarpStoreAlgorithmE2EiEvPT3_
	.globl	_Z17warp_store_kernelILj256ELj16ELj32ELN6hipcub18WarpStoreAlgorithmE2EiEvPT3_
	.p2align	8
	.type	_Z17warp_store_kernelILj256ELj16ELj32ELN6hipcub18WarpStoreAlgorithmE2EiEvPT3_,@function
_Z17warp_store_kernelILj256ELj16ELj32ELN6hipcub18WarpStoreAlgorithmE2EiEvPT3_: ; @_Z17warp_store_kernelILj256ELj16ELj32ELN6hipcub18WarpStoreAlgorithmE2EiEvPT3_
; %bb.0:
	s_load_b64 s[0:1], s[0:1], 0x0
	s_bfe_u32 s2, ttmp6, 0x4000c
	s_and_b32 s3, ttmp6, 15
	s_add_co_i32 s2, s2, 1
	s_getreg_b32 s4, hwreg(HW_REG_IB_STS2, 6, 4)
	s_mul_i32 s2, ttmp9, s2
	v_dual_mov_b32 v11, 0 :: v_dual_lshlrev_b32 v0, 4, v0
	s_add_co_i32 s3, s3, s2
	s_cmp_eq_u32 s4, 0
	v_mbcnt_lo_u32_b32 v6, -1, 0
	s_cselect_b32 s2, ttmp9, s3
	v_mov_b32_e32 v5, 5
	s_lshl_b32 s2, s2, 12
	v_dual_mov_b32 v1, 1 :: v_dual_mov_b32 v2, 2
	v_and_or_b32 v10, 0xe00, v0, s2
	v_dual_mov_b32 v3, 3 :: v_dual_mov_b32 v4, 4
	v_dual_mov_b32 v8, 8 :: v_dual_mov_b32 v0, v11
	s_wait_kmcnt 0x0
	s_delay_alu instid0(VALU_DEP_3) | instskip(SKIP_3) | instid1(VALU_DEP_3)
	v_lshl_add_u64 v[12:13], v[10:11], 2, s[0:1]
	v_dual_lshlrev_b32 v10, 6, v6 :: v_dual_mov_b32 v6, 6
	v_dual_mov_b32 v7, 7 :: v_dual_mov_b32 v9, 9
	v_mov_b32_e32 v14, 14
	v_add_nc_u64_e32 v[16:17], v[12:13], v[10:11]
	v_dual_mov_b32 v10, 10 :: v_dual_mov_b32 v11, 11
	v_dual_mov_b32 v12, 12 :: v_dual_mov_b32 v13, 13
	v_mov_b32_e32 v15, 15
	s_clause 0x3
	global_store_b128 v[16:17], v[0:3], off
	global_store_b128 v[16:17], v[4:7], off offset:16
	global_store_b128 v[16:17], v[8:11], off offset:32
	;; [unrolled: 1-line block ×3, first 2 shown]
	s_endpgm
	.section	.rodata,"a",@progbits
	.p2align	6, 0x0
	.amdhsa_kernel _Z17warp_store_kernelILj256ELj16ELj32ELN6hipcub18WarpStoreAlgorithmE2EiEvPT3_
		.amdhsa_group_segment_fixed_size 0
		.amdhsa_private_segment_fixed_size 0
		.amdhsa_kernarg_size 8
		.amdhsa_user_sgpr_count 2
		.amdhsa_user_sgpr_dispatch_ptr 0
		.amdhsa_user_sgpr_queue_ptr 0
		.amdhsa_user_sgpr_kernarg_segment_ptr 1
		.amdhsa_user_sgpr_dispatch_id 0
		.amdhsa_user_sgpr_kernarg_preload_length 0
		.amdhsa_user_sgpr_kernarg_preload_offset 0
		.amdhsa_user_sgpr_private_segment_size 0
		.amdhsa_wavefront_size32 1
		.amdhsa_uses_dynamic_stack 0
		.amdhsa_enable_private_segment 0
		.amdhsa_system_sgpr_workgroup_id_x 1
		.amdhsa_system_sgpr_workgroup_id_y 0
		.amdhsa_system_sgpr_workgroup_id_z 0
		.amdhsa_system_sgpr_workgroup_info 0
		.amdhsa_system_vgpr_workitem_id 0
		.amdhsa_next_free_vgpr 18
		.amdhsa_next_free_sgpr 5
		.amdhsa_named_barrier_count 0
		.amdhsa_reserve_vcc 0
		.amdhsa_float_round_mode_32 0
		.amdhsa_float_round_mode_16_64 0
		.amdhsa_float_denorm_mode_32 3
		.amdhsa_float_denorm_mode_16_64 3
		.amdhsa_fp16_overflow 0
		.amdhsa_memory_ordered 1
		.amdhsa_forward_progress 1
		.amdhsa_inst_pref_size 2
		.amdhsa_round_robin_scheduling 0
		.amdhsa_exception_fp_ieee_invalid_op 0
		.amdhsa_exception_fp_denorm_src 0
		.amdhsa_exception_fp_ieee_div_zero 0
		.amdhsa_exception_fp_ieee_overflow 0
		.amdhsa_exception_fp_ieee_underflow 0
		.amdhsa_exception_fp_ieee_inexact 0
		.amdhsa_exception_int_div_zero 0
	.end_amdhsa_kernel
	.section	.text._Z17warp_store_kernelILj256ELj16ELj32ELN6hipcub18WarpStoreAlgorithmE2EiEvPT3_,"axG",@progbits,_Z17warp_store_kernelILj256ELj16ELj32ELN6hipcub18WarpStoreAlgorithmE2EiEvPT3_,comdat
.Lfunc_end10:
	.size	_Z17warp_store_kernelILj256ELj16ELj32ELN6hipcub18WarpStoreAlgorithmE2EiEvPT3_, .Lfunc_end10-_Z17warp_store_kernelILj256ELj16ELj32ELN6hipcub18WarpStoreAlgorithmE2EiEvPT3_
                                        ; -- End function
	.set _Z17warp_store_kernelILj256ELj16ELj32ELN6hipcub18WarpStoreAlgorithmE2EiEvPT3_.num_vgpr, 18
	.set _Z17warp_store_kernelILj256ELj16ELj32ELN6hipcub18WarpStoreAlgorithmE2EiEvPT3_.num_agpr, 0
	.set _Z17warp_store_kernelILj256ELj16ELj32ELN6hipcub18WarpStoreAlgorithmE2EiEvPT3_.numbered_sgpr, 5
	.set _Z17warp_store_kernelILj256ELj16ELj32ELN6hipcub18WarpStoreAlgorithmE2EiEvPT3_.num_named_barrier, 0
	.set _Z17warp_store_kernelILj256ELj16ELj32ELN6hipcub18WarpStoreAlgorithmE2EiEvPT3_.private_seg_size, 0
	.set _Z17warp_store_kernelILj256ELj16ELj32ELN6hipcub18WarpStoreAlgorithmE2EiEvPT3_.uses_vcc, 0
	.set _Z17warp_store_kernelILj256ELj16ELj32ELN6hipcub18WarpStoreAlgorithmE2EiEvPT3_.uses_flat_scratch, 0
	.set _Z17warp_store_kernelILj256ELj16ELj32ELN6hipcub18WarpStoreAlgorithmE2EiEvPT3_.has_dyn_sized_stack, 0
	.set _Z17warp_store_kernelILj256ELj16ELj32ELN6hipcub18WarpStoreAlgorithmE2EiEvPT3_.has_recursion, 0
	.set _Z17warp_store_kernelILj256ELj16ELj32ELN6hipcub18WarpStoreAlgorithmE2EiEvPT3_.has_indirect_call, 0
	.section	.AMDGPU.csdata,"",@progbits
; Kernel info:
; codeLenInByte = 232
; TotalNumSgprs: 5
; NumVgprs: 18
; ScratchSize: 0
; MemoryBound: 1
; FloatMode: 240
; IeeeMode: 1
; LDSByteSize: 0 bytes/workgroup (compile time only)
; SGPRBlocks: 0
; VGPRBlocks: 1
; NumSGPRsForWavesPerEU: 5
; NumVGPRsForWavesPerEU: 18
; NamedBarCnt: 0
; Occupancy: 16
; WaveLimiterHint : 1
; COMPUTE_PGM_RSRC2:SCRATCH_EN: 0
; COMPUTE_PGM_RSRC2:USER_SGPR: 2
; COMPUTE_PGM_RSRC2:TRAP_HANDLER: 0
; COMPUTE_PGM_RSRC2:TGID_X_EN: 1
; COMPUTE_PGM_RSRC2:TGID_Y_EN: 0
; COMPUTE_PGM_RSRC2:TGID_Z_EN: 0
; COMPUTE_PGM_RSRC2:TIDIG_COMP_CNT: 0
	.section	.text._Z17warp_store_kernelILj256ELj16ELj32ELN6hipcub18WarpStoreAlgorithmE3EiEvPT3_,"axG",@progbits,_Z17warp_store_kernelILj256ELj16ELj32ELN6hipcub18WarpStoreAlgorithmE3EiEvPT3_,comdat
	.protected	_Z17warp_store_kernelILj256ELj16ELj32ELN6hipcub18WarpStoreAlgorithmE3EiEvPT3_ ; -- Begin function _Z17warp_store_kernelILj256ELj16ELj32ELN6hipcub18WarpStoreAlgorithmE3EiEvPT3_
	.globl	_Z17warp_store_kernelILj256ELj16ELj32ELN6hipcub18WarpStoreAlgorithmE3EiEvPT3_
	.p2align	8
	.type	_Z17warp_store_kernelILj256ELj16ELj32ELN6hipcub18WarpStoreAlgorithmE3EiEvPT3_,@function
_Z17warp_store_kernelILj256ELj16ELj32ELN6hipcub18WarpStoreAlgorithmE3EiEvPT3_: ; @_Z17warp_store_kernelILj256ELj16ELj32ELN6hipcub18WarpStoreAlgorithmE3EiEvPT3_
; %bb.0:
	v_mbcnt_lo_u32_b32 v18, -1, 0
	s_load_b64 s[0:1], s[0:1], 0x0
	s_bfe_u32 s2, ttmp6, 0x4000c
	v_lshrrev_b32_e32 v0, 5, v0
	s_add_co_i32 s2, s2, 1
	v_lshlrev_b32_e32 v1, 6, v18
	s_and_b32 s3, ttmp6, 15
	s_mul_i32 s2, ttmp9, s2
	s_getreg_b32 s4, hwreg(HW_REG_IB_STS2, 6, 4)
	s_add_co_i32 s3, s3, s2
	s_cmp_eq_u32 s4, 0
	v_mov_b32_e32 v17, 0
	v_lshl_or_b32 v19, v0, 11, v1
	s_cselect_b32 s2, ttmp9, s3
	v_mov_b32_e32 v1, 1
	s_lshl_b32 s2, s2, 12
	v_dual_mov_b32 v2, 2 :: v_dual_mov_b32 v3, 3
	v_lshl_or_b32 v16, v0, 9, s2
	v_dual_mov_b32 v0, v17 :: v_dual_mov_b32 v4, 4
	v_dual_mov_b32 v7, 7 :: v_dual_mov_b32 v8, 8
	;; [unrolled: 1-line block ×4, first 2 shown]
	v_mad_i32_i24 v20, 0xffffffc4, v18, v19
	v_dual_mov_b32 v5, 5 :: v_dual_mov_b32 v6, 6
	v_dual_mov_b32 v13, 13 :: v_dual_mov_b32 v14, 14
	v_mov_b32_e32 v15, 15
	ds_store_b128 v19, v[0:3]
	ds_store_b128 v19, v[4:7] offset:16
	s_wait_kmcnt 0x0
	v_lshl_add_u64 v[6:7], v[16:17], 2, s[0:1]
	v_lshlrev_b32_e32 v16, 2, v18
	ds_store_b128 v19, v[8:11] offset:32
	ds_store_b128 v19, v[12:15] offset:48
	v_add_nc_u32_e32 v19, 0x400, v20
	; wave barrier
	ds_load_2addr_b32 v[0:1], v20 offset1:32
	ds_load_2addr_b32 v[2:3], v20 offset0:64 offset1:96
	ds_load_2addr_b32 v[4:5], v20 offset0:128 offset1:160
	;; [unrolled: 1-line block ×3, first 2 shown]
	ds_load_2addr_b32 v[10:11], v19 offset1:32
	ds_load_2addr_b32 v[12:13], v19 offset0:64 offset1:96
	ds_load_2addr_b32 v[14:15], v19 offset0:128 offset1:160
	v_add_nc_u64_e32 v[6:7], v[6:7], v[16:17]
	ds_load_2addr_b32 v[16:17], v19 offset0:192 offset1:224
	s_wait_dscnt 0x7
	s_clause 0x1
	global_store_b32 v[6:7], v0, off
	global_store_b32 v[6:7], v1, off offset:128
	s_wait_dscnt 0x6
	s_clause 0x1
	global_store_b32 v[6:7], v2, off offset:256
	global_store_b32 v[6:7], v3, off offset:384
	s_wait_dscnt 0x5
	s_clause 0x1
	global_store_b32 v[6:7], v4, off offset:512
	;; [unrolled: 4-line block ×7, first 2 shown]
	global_store_b32 v[6:7], v17, off offset:1920
	s_endpgm
	.section	.rodata,"a",@progbits
	.p2align	6, 0x0
	.amdhsa_kernel _Z17warp_store_kernelILj256ELj16ELj32ELN6hipcub18WarpStoreAlgorithmE3EiEvPT3_
		.amdhsa_group_segment_fixed_size 16384
		.amdhsa_private_segment_fixed_size 0
		.amdhsa_kernarg_size 8
		.amdhsa_user_sgpr_count 2
		.amdhsa_user_sgpr_dispatch_ptr 0
		.amdhsa_user_sgpr_queue_ptr 0
		.amdhsa_user_sgpr_kernarg_segment_ptr 1
		.amdhsa_user_sgpr_dispatch_id 0
		.amdhsa_user_sgpr_kernarg_preload_length 0
		.amdhsa_user_sgpr_kernarg_preload_offset 0
		.amdhsa_user_sgpr_private_segment_size 0
		.amdhsa_wavefront_size32 1
		.amdhsa_uses_dynamic_stack 0
		.amdhsa_enable_private_segment 0
		.amdhsa_system_sgpr_workgroup_id_x 1
		.amdhsa_system_sgpr_workgroup_id_y 0
		.amdhsa_system_sgpr_workgroup_id_z 0
		.amdhsa_system_sgpr_workgroup_info 0
		.amdhsa_system_vgpr_workitem_id 0
		.amdhsa_next_free_vgpr 21
		.amdhsa_next_free_sgpr 5
		.amdhsa_named_barrier_count 0
		.amdhsa_reserve_vcc 0
		.amdhsa_float_round_mode_32 0
		.amdhsa_float_round_mode_16_64 0
		.amdhsa_float_denorm_mode_32 3
		.amdhsa_float_denorm_mode_16_64 3
		.amdhsa_fp16_overflow 0
		.amdhsa_memory_ordered 1
		.amdhsa_forward_progress 1
		.amdhsa_inst_pref_size 5
		.amdhsa_round_robin_scheduling 0
		.amdhsa_exception_fp_ieee_invalid_op 0
		.amdhsa_exception_fp_denorm_src 0
		.amdhsa_exception_fp_ieee_div_zero 0
		.amdhsa_exception_fp_ieee_overflow 0
		.amdhsa_exception_fp_ieee_underflow 0
		.amdhsa_exception_fp_ieee_inexact 0
		.amdhsa_exception_int_div_zero 0
	.end_amdhsa_kernel
	.section	.text._Z17warp_store_kernelILj256ELj16ELj32ELN6hipcub18WarpStoreAlgorithmE3EiEvPT3_,"axG",@progbits,_Z17warp_store_kernelILj256ELj16ELj32ELN6hipcub18WarpStoreAlgorithmE3EiEvPT3_,comdat
.Lfunc_end11:
	.size	_Z17warp_store_kernelILj256ELj16ELj32ELN6hipcub18WarpStoreAlgorithmE3EiEvPT3_, .Lfunc_end11-_Z17warp_store_kernelILj256ELj16ELj32ELN6hipcub18WarpStoreAlgorithmE3EiEvPT3_
                                        ; -- End function
	.set _Z17warp_store_kernelILj256ELj16ELj32ELN6hipcub18WarpStoreAlgorithmE3EiEvPT3_.num_vgpr, 21
	.set _Z17warp_store_kernelILj256ELj16ELj32ELN6hipcub18WarpStoreAlgorithmE3EiEvPT3_.num_agpr, 0
	.set _Z17warp_store_kernelILj256ELj16ELj32ELN6hipcub18WarpStoreAlgorithmE3EiEvPT3_.numbered_sgpr, 5
	.set _Z17warp_store_kernelILj256ELj16ELj32ELN6hipcub18WarpStoreAlgorithmE3EiEvPT3_.num_named_barrier, 0
	.set _Z17warp_store_kernelILj256ELj16ELj32ELN6hipcub18WarpStoreAlgorithmE3EiEvPT3_.private_seg_size, 0
	.set _Z17warp_store_kernelILj256ELj16ELj32ELN6hipcub18WarpStoreAlgorithmE3EiEvPT3_.uses_vcc, 0
	.set _Z17warp_store_kernelILj256ELj16ELj32ELN6hipcub18WarpStoreAlgorithmE3EiEvPT3_.uses_flat_scratch, 0
	.set _Z17warp_store_kernelILj256ELj16ELj32ELN6hipcub18WarpStoreAlgorithmE3EiEvPT3_.has_dyn_sized_stack, 0
	.set _Z17warp_store_kernelILj256ELj16ELj32ELN6hipcub18WarpStoreAlgorithmE3EiEvPT3_.has_recursion, 0
	.set _Z17warp_store_kernelILj256ELj16ELj32ELN6hipcub18WarpStoreAlgorithmE3EiEvPT3_.has_indirect_call, 0
	.section	.AMDGPU.csdata,"",@progbits
; Kernel info:
; codeLenInByte = 548
; TotalNumSgprs: 5
; NumVgprs: 21
; ScratchSize: 0
; MemoryBound: 1
; FloatMode: 240
; IeeeMode: 1
; LDSByteSize: 16384 bytes/workgroup (compile time only)
; SGPRBlocks: 0
; VGPRBlocks: 1
; NumSGPRsForWavesPerEU: 5
; NumVGPRsForWavesPerEU: 21
; NamedBarCnt: 0
; Occupancy: 16
; WaveLimiterHint : 1
; COMPUTE_PGM_RSRC2:SCRATCH_EN: 0
; COMPUTE_PGM_RSRC2:USER_SGPR: 2
; COMPUTE_PGM_RSRC2:TRAP_HANDLER: 0
; COMPUTE_PGM_RSRC2:TGID_X_EN: 1
; COMPUTE_PGM_RSRC2:TGID_Y_EN: 0
; COMPUTE_PGM_RSRC2:TGID_Z_EN: 0
; COMPUTE_PGM_RSRC2:TIDIG_COMP_CNT: 0
	.section	.text._Z17warp_store_kernelILj256ELj32ELj32ELN6hipcub18WarpStoreAlgorithmE0EiEvPT3_,"axG",@progbits,_Z17warp_store_kernelILj256ELj32ELj32ELN6hipcub18WarpStoreAlgorithmE0EiEvPT3_,comdat
	.protected	_Z17warp_store_kernelILj256ELj32ELj32ELN6hipcub18WarpStoreAlgorithmE0EiEvPT3_ ; -- Begin function _Z17warp_store_kernelILj256ELj32ELj32ELN6hipcub18WarpStoreAlgorithmE0EiEvPT3_
	.globl	_Z17warp_store_kernelILj256ELj32ELj32ELN6hipcub18WarpStoreAlgorithmE0EiEvPT3_
	.p2align	8
	.type	_Z17warp_store_kernelILj256ELj32ELj32ELN6hipcub18WarpStoreAlgorithmE0EiEvPT3_,@function
_Z17warp_store_kernelILj256ELj32ELj32ELN6hipcub18WarpStoreAlgorithmE0EiEvPT3_: ; @_Z17warp_store_kernelILj256ELj32ELj32ELN6hipcub18WarpStoreAlgorithmE0EiEvPT3_
; %bb.0:
	s_load_b64 s[0:1], s[0:1], 0x0
	s_bfe_u32 s2, ttmp6, 0x4000c
	s_and_b32 s3, ttmp6, 15
	s_add_co_i32 s2, s2, 1
	s_getreg_b32 s4, hwreg(HW_REG_IB_STS2, 6, 4)
	s_mul_i32 s2, ttmp9, s2
	v_dual_mov_b32 v11, 0 :: v_dual_lshlrev_b32 v0, 5, v0
	s_add_co_i32 s3, s3, s2
	s_cmp_eq_u32 s4, 0
	v_mbcnt_lo_u32_b32 v5, -1, 0
	s_cselect_b32 s2, ttmp9, s3
	v_dual_mov_b32 v1, 1 :: v_dual_mov_b32 v2, 2
	s_lshl_b32 s2, s2, 13
	v_dual_mov_b32 v3, 3 :: v_dual_mov_b32 v4, 4
	v_and_or_b32 v10, 0x1c00, v0, s2
	v_dual_mov_b32 v0, v11 :: v_dual_mov_b32 v6, 6
	v_dual_mov_b32 v7, 7 :: v_dual_mov_b32 v8, 8
	v_mov_b32_e32 v9, 9
	s_wait_kmcnt 0x0
	v_lshl_add_u64 v[12:13], v[10:11], 2, s[0:1]
	v_dual_mov_b32 v5, 5 :: v_dual_lshlrev_b32 v10, 7, v5
	v_dual_mov_b32 v14, 14 :: v_dual_mov_b32 v15, 15
	v_dual_mov_b32 v17, 25 :: v_dual_mov_b32 v18, 26
	s_delay_alu instid0(VALU_DEP_3)
	v_add_nc_u64_e32 v[24:25], v[12:13], v[10:11]
	v_dual_mov_b32 v10, 10 :: v_dual_mov_b32 v11, 11
	v_dual_mov_b32 v12, 12 :: v_dual_mov_b32 v13, 13
	s_clause 0x1
	global_store_b128 v[24:25], v[0:3], off
	global_store_b128 v[24:25], v[4:7], off offset:16
	s_wait_xcnt 0x1
	v_dual_mov_b32 v0, 16 :: v_dual_mov_b32 v1, 17
	v_dual_mov_b32 v2, 18 :: v_dual_mov_b32 v3, 19
	s_wait_xcnt 0x0
	v_dual_mov_b32 v4, 20 :: v_dual_mov_b32 v5, 21
	v_dual_mov_b32 v6, 22 :: v_dual_mov_b32 v7, 23
	;; [unrolled: 1-line block ×5, first 2 shown]
	s_clause 0x5
	global_store_b128 v[24:25], v[8:11], off offset:32
	global_store_b128 v[24:25], v[12:15], off offset:48
	;; [unrolled: 1-line block ×6, first 2 shown]
	s_endpgm
	.section	.rodata,"a",@progbits
	.p2align	6, 0x0
	.amdhsa_kernel _Z17warp_store_kernelILj256ELj32ELj32ELN6hipcub18WarpStoreAlgorithmE0EiEvPT3_
		.amdhsa_group_segment_fixed_size 0
		.amdhsa_private_segment_fixed_size 0
		.amdhsa_kernarg_size 8
		.amdhsa_user_sgpr_count 2
		.amdhsa_user_sgpr_dispatch_ptr 0
		.amdhsa_user_sgpr_queue_ptr 0
		.amdhsa_user_sgpr_kernarg_segment_ptr 1
		.amdhsa_user_sgpr_dispatch_id 0
		.amdhsa_user_sgpr_kernarg_preload_length 0
		.amdhsa_user_sgpr_kernarg_preload_offset 0
		.amdhsa_user_sgpr_private_segment_size 0
		.amdhsa_wavefront_size32 1
		.amdhsa_uses_dynamic_stack 0
		.amdhsa_enable_private_segment 0
		.amdhsa_system_sgpr_workgroup_id_x 1
		.amdhsa_system_sgpr_workgroup_id_y 0
		.amdhsa_system_sgpr_workgroup_id_z 0
		.amdhsa_system_sgpr_workgroup_info 0
		.amdhsa_system_vgpr_workitem_id 0
		.amdhsa_next_free_vgpr 26
		.amdhsa_next_free_sgpr 5
		.amdhsa_named_barrier_count 0
		.amdhsa_reserve_vcc 0
		.amdhsa_float_round_mode_32 0
		.amdhsa_float_round_mode_16_64 0
		.amdhsa_float_denorm_mode_32 3
		.amdhsa_float_denorm_mode_16_64 3
		.amdhsa_fp16_overflow 0
		.amdhsa_memory_ordered 1
		.amdhsa_forward_progress 1
		.amdhsa_inst_pref_size 3
		.amdhsa_round_robin_scheduling 0
		.amdhsa_exception_fp_ieee_invalid_op 0
		.amdhsa_exception_fp_denorm_src 0
		.amdhsa_exception_fp_ieee_div_zero 0
		.amdhsa_exception_fp_ieee_overflow 0
		.amdhsa_exception_fp_ieee_underflow 0
		.amdhsa_exception_fp_ieee_inexact 0
		.amdhsa_exception_int_div_zero 0
	.end_amdhsa_kernel
	.section	.text._Z17warp_store_kernelILj256ELj32ELj32ELN6hipcub18WarpStoreAlgorithmE0EiEvPT3_,"axG",@progbits,_Z17warp_store_kernelILj256ELj32ELj32ELN6hipcub18WarpStoreAlgorithmE0EiEvPT3_,comdat
.Lfunc_end12:
	.size	_Z17warp_store_kernelILj256ELj32ELj32ELN6hipcub18WarpStoreAlgorithmE0EiEvPT3_, .Lfunc_end12-_Z17warp_store_kernelILj256ELj32ELj32ELN6hipcub18WarpStoreAlgorithmE0EiEvPT3_
                                        ; -- End function
	.set _Z17warp_store_kernelILj256ELj32ELj32ELN6hipcub18WarpStoreAlgorithmE0EiEvPT3_.num_vgpr, 26
	.set _Z17warp_store_kernelILj256ELj32ELj32ELN6hipcub18WarpStoreAlgorithmE0EiEvPT3_.num_agpr, 0
	.set _Z17warp_store_kernelILj256ELj32ELj32ELN6hipcub18WarpStoreAlgorithmE0EiEvPT3_.numbered_sgpr, 5
	.set _Z17warp_store_kernelILj256ELj32ELj32ELN6hipcub18WarpStoreAlgorithmE0EiEvPT3_.num_named_barrier, 0
	.set _Z17warp_store_kernelILj256ELj32ELj32ELN6hipcub18WarpStoreAlgorithmE0EiEvPT3_.private_seg_size, 0
	.set _Z17warp_store_kernelILj256ELj32ELj32ELN6hipcub18WarpStoreAlgorithmE0EiEvPT3_.uses_vcc, 0
	.set _Z17warp_store_kernelILj256ELj32ELj32ELN6hipcub18WarpStoreAlgorithmE0EiEvPT3_.uses_flat_scratch, 0
	.set _Z17warp_store_kernelILj256ELj32ELj32ELN6hipcub18WarpStoreAlgorithmE0EiEvPT3_.has_dyn_sized_stack, 0
	.set _Z17warp_store_kernelILj256ELj32ELj32ELN6hipcub18WarpStoreAlgorithmE0EiEvPT3_.has_recursion, 0
	.set _Z17warp_store_kernelILj256ELj32ELj32ELN6hipcub18WarpStoreAlgorithmE0EiEvPT3_.has_indirect_call, 0
	.section	.AMDGPU.csdata,"",@progbits
; Kernel info:
; codeLenInByte = 348
; TotalNumSgprs: 5
; NumVgprs: 26
; ScratchSize: 0
; MemoryBound: 1
; FloatMode: 240
; IeeeMode: 1
; LDSByteSize: 0 bytes/workgroup (compile time only)
; SGPRBlocks: 0
; VGPRBlocks: 1
; NumSGPRsForWavesPerEU: 5
; NumVGPRsForWavesPerEU: 26
; NamedBarCnt: 0
; Occupancy: 16
; WaveLimiterHint : 1
; COMPUTE_PGM_RSRC2:SCRATCH_EN: 0
; COMPUTE_PGM_RSRC2:USER_SGPR: 2
; COMPUTE_PGM_RSRC2:TRAP_HANDLER: 0
; COMPUTE_PGM_RSRC2:TGID_X_EN: 1
; COMPUTE_PGM_RSRC2:TGID_Y_EN: 0
; COMPUTE_PGM_RSRC2:TGID_Z_EN: 0
; COMPUTE_PGM_RSRC2:TIDIG_COMP_CNT: 0
	.section	.text._Z17warp_store_kernelILj256ELj32ELj32ELN6hipcub18WarpStoreAlgorithmE1EiEvPT3_,"axG",@progbits,_Z17warp_store_kernelILj256ELj32ELj32ELN6hipcub18WarpStoreAlgorithmE1EiEvPT3_,comdat
	.protected	_Z17warp_store_kernelILj256ELj32ELj32ELN6hipcub18WarpStoreAlgorithmE1EiEvPT3_ ; -- Begin function _Z17warp_store_kernelILj256ELj32ELj32ELN6hipcub18WarpStoreAlgorithmE1EiEvPT3_
	.globl	_Z17warp_store_kernelILj256ELj32ELj32ELN6hipcub18WarpStoreAlgorithmE1EiEvPT3_
	.p2align	8
	.type	_Z17warp_store_kernelILj256ELj32ELj32ELN6hipcub18WarpStoreAlgorithmE1EiEvPT3_,@function
_Z17warp_store_kernelILj256ELj32ELj32ELN6hipcub18WarpStoreAlgorithmE1EiEvPT3_: ; @_Z17warp_store_kernelILj256ELj32ELj32ELN6hipcub18WarpStoreAlgorithmE1EiEvPT3_
; %bb.0:
	s_load_b64 s[0:1], s[0:1], 0x0
	s_bfe_u32 s2, ttmp6, 0x4000c
	s_and_b32 s3, ttmp6, 15
	s_add_co_i32 s2, s2, 1
	s_getreg_b32 s4, hwreg(HW_REG_IB_STS2, 6, 4)
	s_mul_i32 s2, ttmp9, s2
	v_dual_mov_b32 v1, 0 :: v_dual_lshlrev_b32 v0, 5, v0
	s_add_co_i32 s3, s3, s2
	s_cmp_eq_u32 s4, 0
	v_mbcnt_lo_u32_b32 v4, -1, 0
	s_cselect_b32 s2, ttmp9, s3
	v_mov_b32_e32 v5, 2
	s_lshl_b32 s2, s2, 13
	v_dual_mov_b32 v6, 3 :: v_dual_mov_b32 v7, 4
	v_and_or_b32 v0, 0x1c00, v0, s2
	v_dual_mov_b32 v10, 8 :: v_dual_mov_b32 v8, 6
	v_mov_b32_e32 v9, 7
	s_wait_kmcnt 0x0
	s_delay_alu instid0(VALU_DEP_3) | instskip(SKIP_1) | instid1(VALU_DEP_1)
	v_lshl_add_u64 v[2:3], v[0:1], 2, s[0:1]
	v_dual_lshlrev_b32 v0, 2, v4 :: v_dual_mov_b32 v4, 5
	v_add_nc_u64_e32 v[2:3], v[2:3], v[0:1]
	v_mov_b32_e32 v0, 1
	s_clause 0x7
	global_store_b32 v[2:3], v1, off
	global_store_b32 v[2:3], v0, off offset:128
	global_store_b32 v[2:3], v5, off offset:256
	;; [unrolled: 1-line block ×7, first 2 shown]
	s_wait_xcnt 0x6
	v_dual_mov_b32 v0, 9 :: v_dual_mov_b32 v1, 10
	s_wait_xcnt 0x2
	v_dual_mov_b32 v4, 11 :: v_dual_mov_b32 v5, 12
	v_dual_mov_b32 v6, 13 :: v_dual_mov_b32 v7, 14
	s_wait_xcnt 0x1
	v_mov_b32_e32 v8, 15
	s_clause 0x7
	global_store_b32 v[2:3], v10, off offset:1024
	global_store_b32 v[2:3], v0, off offset:1152
	;; [unrolled: 1-line block ×8, first 2 shown]
	s_wait_xcnt 0x5
	v_dual_mov_b32 v0, 16 :: v_dual_mov_b32 v1, 17
	s_wait_xcnt 0x3
	v_dual_mov_b32 v4, 18 :: v_dual_mov_b32 v5, 19
	;; [unrolled: 2-line block ×4, first 2 shown]
	s_clause 0x7
	global_store_b32 v[2:3], v0, off offset:2048
	global_store_b32 v[2:3], v1, off offset:2176
	;; [unrolled: 1-line block ×8, first 2 shown]
	s_wait_xcnt 0x6
	v_dual_mov_b32 v0, 24 :: v_dual_mov_b32 v1, 25
	s_wait_xcnt 0x4
	v_dual_mov_b32 v4, 26 :: v_dual_mov_b32 v5, 27
	;; [unrolled: 2-line block ×4, first 2 shown]
	s_clause 0x7
	global_store_b32 v[2:3], v0, off offset:3072
	global_store_b32 v[2:3], v1, off offset:3200
	;; [unrolled: 1-line block ×8, first 2 shown]
	s_endpgm
	.section	.rodata,"a",@progbits
	.p2align	6, 0x0
	.amdhsa_kernel _Z17warp_store_kernelILj256ELj32ELj32ELN6hipcub18WarpStoreAlgorithmE1EiEvPT3_
		.amdhsa_group_segment_fixed_size 0
		.amdhsa_private_segment_fixed_size 0
		.amdhsa_kernarg_size 8
		.amdhsa_user_sgpr_count 2
		.amdhsa_user_sgpr_dispatch_ptr 0
		.amdhsa_user_sgpr_queue_ptr 0
		.amdhsa_user_sgpr_kernarg_segment_ptr 1
		.amdhsa_user_sgpr_dispatch_id 0
		.amdhsa_user_sgpr_kernarg_preload_length 0
		.amdhsa_user_sgpr_kernarg_preload_offset 0
		.amdhsa_user_sgpr_private_segment_size 0
		.amdhsa_wavefront_size32 1
		.amdhsa_uses_dynamic_stack 0
		.amdhsa_enable_private_segment 0
		.amdhsa_system_sgpr_workgroup_id_x 1
		.amdhsa_system_sgpr_workgroup_id_y 0
		.amdhsa_system_sgpr_workgroup_id_z 0
		.amdhsa_system_sgpr_workgroup_info 0
		.amdhsa_system_vgpr_workitem_id 0
		.amdhsa_next_free_vgpr 11
		.amdhsa_next_free_sgpr 5
		.amdhsa_named_barrier_count 0
		.amdhsa_reserve_vcc 0
		.amdhsa_float_round_mode_32 0
		.amdhsa_float_round_mode_16_64 0
		.amdhsa_float_denorm_mode_32 3
		.amdhsa_float_denorm_mode_16_64 3
		.amdhsa_fp16_overflow 0
		.amdhsa_memory_ordered 1
		.amdhsa_forward_progress 1
		.amdhsa_inst_pref_size 6
		.amdhsa_round_robin_scheduling 0
		.amdhsa_exception_fp_ieee_invalid_op 0
		.amdhsa_exception_fp_denorm_src 0
		.amdhsa_exception_fp_ieee_div_zero 0
		.amdhsa_exception_fp_ieee_overflow 0
		.amdhsa_exception_fp_ieee_underflow 0
		.amdhsa_exception_fp_ieee_inexact 0
		.amdhsa_exception_int_div_zero 0
	.end_amdhsa_kernel
	.section	.text._Z17warp_store_kernelILj256ELj32ELj32ELN6hipcub18WarpStoreAlgorithmE1EiEvPT3_,"axG",@progbits,_Z17warp_store_kernelILj256ELj32ELj32ELN6hipcub18WarpStoreAlgorithmE1EiEvPT3_,comdat
.Lfunc_end13:
	.size	_Z17warp_store_kernelILj256ELj32ELj32ELN6hipcub18WarpStoreAlgorithmE1EiEvPT3_, .Lfunc_end13-_Z17warp_store_kernelILj256ELj32ELj32ELN6hipcub18WarpStoreAlgorithmE1EiEvPT3_
                                        ; -- End function
	.set _Z17warp_store_kernelILj256ELj32ELj32ELN6hipcub18WarpStoreAlgorithmE1EiEvPT3_.num_vgpr, 11
	.set _Z17warp_store_kernelILj256ELj32ELj32ELN6hipcub18WarpStoreAlgorithmE1EiEvPT3_.num_agpr, 0
	.set _Z17warp_store_kernelILj256ELj32ELj32ELN6hipcub18WarpStoreAlgorithmE1EiEvPT3_.numbered_sgpr, 5
	.set _Z17warp_store_kernelILj256ELj32ELj32ELN6hipcub18WarpStoreAlgorithmE1EiEvPT3_.num_named_barrier, 0
	.set _Z17warp_store_kernelILj256ELj32ELj32ELN6hipcub18WarpStoreAlgorithmE1EiEvPT3_.private_seg_size, 0
	.set _Z17warp_store_kernelILj256ELj32ELj32ELN6hipcub18WarpStoreAlgorithmE1EiEvPT3_.uses_vcc, 0
	.set _Z17warp_store_kernelILj256ELj32ELj32ELN6hipcub18WarpStoreAlgorithmE1EiEvPT3_.uses_flat_scratch, 0
	.set _Z17warp_store_kernelILj256ELj32ELj32ELN6hipcub18WarpStoreAlgorithmE1EiEvPT3_.has_dyn_sized_stack, 0
	.set _Z17warp_store_kernelILj256ELj32ELj32ELN6hipcub18WarpStoreAlgorithmE1EiEvPT3_.has_recursion, 0
	.set _Z17warp_store_kernelILj256ELj32ELj32ELN6hipcub18WarpStoreAlgorithmE1EiEvPT3_.has_indirect_call, 0
	.section	.AMDGPU.csdata,"",@progbits
; Kernel info:
; codeLenInByte = 680
; TotalNumSgprs: 5
; NumVgprs: 11
; ScratchSize: 0
; MemoryBound: 1
; FloatMode: 240
; IeeeMode: 1
; LDSByteSize: 0 bytes/workgroup (compile time only)
; SGPRBlocks: 0
; VGPRBlocks: 0
; NumSGPRsForWavesPerEU: 5
; NumVGPRsForWavesPerEU: 11
; NamedBarCnt: 0
; Occupancy: 16
; WaveLimiterHint : 1
; COMPUTE_PGM_RSRC2:SCRATCH_EN: 0
; COMPUTE_PGM_RSRC2:USER_SGPR: 2
; COMPUTE_PGM_RSRC2:TRAP_HANDLER: 0
; COMPUTE_PGM_RSRC2:TGID_X_EN: 1
; COMPUTE_PGM_RSRC2:TGID_Y_EN: 0
; COMPUTE_PGM_RSRC2:TGID_Z_EN: 0
; COMPUTE_PGM_RSRC2:TIDIG_COMP_CNT: 0
	.section	.text._Z17warp_store_kernelILj256ELj32ELj32ELN6hipcub18WarpStoreAlgorithmE2EiEvPT3_,"axG",@progbits,_Z17warp_store_kernelILj256ELj32ELj32ELN6hipcub18WarpStoreAlgorithmE2EiEvPT3_,comdat
	.protected	_Z17warp_store_kernelILj256ELj32ELj32ELN6hipcub18WarpStoreAlgorithmE2EiEvPT3_ ; -- Begin function _Z17warp_store_kernelILj256ELj32ELj32ELN6hipcub18WarpStoreAlgorithmE2EiEvPT3_
	.globl	_Z17warp_store_kernelILj256ELj32ELj32ELN6hipcub18WarpStoreAlgorithmE2EiEvPT3_
	.p2align	8
	.type	_Z17warp_store_kernelILj256ELj32ELj32ELN6hipcub18WarpStoreAlgorithmE2EiEvPT3_,@function
_Z17warp_store_kernelILj256ELj32ELj32ELN6hipcub18WarpStoreAlgorithmE2EiEvPT3_: ; @_Z17warp_store_kernelILj256ELj32ELj32ELN6hipcub18WarpStoreAlgorithmE2EiEvPT3_
; %bb.0:
	s_load_b64 s[0:1], s[0:1], 0x0
	s_bfe_u32 s2, ttmp6, 0x4000c
	s_and_b32 s3, ttmp6, 15
	s_add_co_i32 s2, s2, 1
	s_getreg_b32 s4, hwreg(HW_REG_IB_STS2, 6, 4)
	s_mul_i32 s2, ttmp9, s2
	v_dual_mov_b32 v11, 0 :: v_dual_lshlrev_b32 v0, 5, v0
	s_add_co_i32 s3, s3, s2
	s_cmp_eq_u32 s4, 0
	v_mbcnt_lo_u32_b32 v5, -1, 0
	s_cselect_b32 s2, ttmp9, s3
	v_dual_mov_b32 v1, 1 :: v_dual_mov_b32 v2, 2
	s_lshl_b32 s2, s2, 13
	v_dual_mov_b32 v3, 3 :: v_dual_mov_b32 v4, 4
	v_and_or_b32 v10, 0x1c00, v0, s2
	v_dual_mov_b32 v0, v11 :: v_dual_mov_b32 v6, 6
	v_dual_mov_b32 v7, 7 :: v_dual_mov_b32 v8, 8
	v_mov_b32_e32 v9, 9
	s_wait_kmcnt 0x0
	v_lshl_add_u64 v[12:13], v[10:11], 2, s[0:1]
	v_dual_mov_b32 v5, 5 :: v_dual_lshlrev_b32 v10, 7, v5
	v_dual_mov_b32 v14, 14 :: v_dual_mov_b32 v15, 15
	v_dual_mov_b32 v17, 25 :: v_dual_mov_b32 v18, 26
	s_delay_alu instid0(VALU_DEP_3)
	v_add_nc_u64_e32 v[24:25], v[12:13], v[10:11]
	v_dual_mov_b32 v10, 10 :: v_dual_mov_b32 v11, 11
	v_dual_mov_b32 v12, 12 :: v_dual_mov_b32 v13, 13
	s_clause 0x1
	global_store_b128 v[24:25], v[0:3], off
	global_store_b128 v[24:25], v[4:7], off offset:16
	s_wait_xcnt 0x1
	v_dual_mov_b32 v0, 16 :: v_dual_mov_b32 v1, 17
	v_dual_mov_b32 v2, 18 :: v_dual_mov_b32 v3, 19
	s_wait_xcnt 0x0
	v_dual_mov_b32 v4, 20 :: v_dual_mov_b32 v5, 21
	v_dual_mov_b32 v6, 22 :: v_dual_mov_b32 v7, 23
	;; [unrolled: 1-line block ×5, first 2 shown]
	s_clause 0x5
	global_store_b128 v[24:25], v[8:11], off offset:32
	global_store_b128 v[24:25], v[12:15], off offset:48
	;; [unrolled: 1-line block ×6, first 2 shown]
	s_endpgm
	.section	.rodata,"a",@progbits
	.p2align	6, 0x0
	.amdhsa_kernel _Z17warp_store_kernelILj256ELj32ELj32ELN6hipcub18WarpStoreAlgorithmE2EiEvPT3_
		.amdhsa_group_segment_fixed_size 0
		.amdhsa_private_segment_fixed_size 0
		.amdhsa_kernarg_size 8
		.amdhsa_user_sgpr_count 2
		.amdhsa_user_sgpr_dispatch_ptr 0
		.amdhsa_user_sgpr_queue_ptr 0
		.amdhsa_user_sgpr_kernarg_segment_ptr 1
		.amdhsa_user_sgpr_dispatch_id 0
		.amdhsa_user_sgpr_kernarg_preload_length 0
		.amdhsa_user_sgpr_kernarg_preload_offset 0
		.amdhsa_user_sgpr_private_segment_size 0
		.amdhsa_wavefront_size32 1
		.amdhsa_uses_dynamic_stack 0
		.amdhsa_enable_private_segment 0
		.amdhsa_system_sgpr_workgroup_id_x 1
		.amdhsa_system_sgpr_workgroup_id_y 0
		.amdhsa_system_sgpr_workgroup_id_z 0
		.amdhsa_system_sgpr_workgroup_info 0
		.amdhsa_system_vgpr_workitem_id 0
		.amdhsa_next_free_vgpr 26
		.amdhsa_next_free_sgpr 5
		.amdhsa_named_barrier_count 0
		.amdhsa_reserve_vcc 0
		.amdhsa_float_round_mode_32 0
		.amdhsa_float_round_mode_16_64 0
		.amdhsa_float_denorm_mode_32 3
		.amdhsa_float_denorm_mode_16_64 3
		.amdhsa_fp16_overflow 0
		.amdhsa_memory_ordered 1
		.amdhsa_forward_progress 1
		.amdhsa_inst_pref_size 3
		.amdhsa_round_robin_scheduling 0
		.amdhsa_exception_fp_ieee_invalid_op 0
		.amdhsa_exception_fp_denorm_src 0
		.amdhsa_exception_fp_ieee_div_zero 0
		.amdhsa_exception_fp_ieee_overflow 0
		.amdhsa_exception_fp_ieee_underflow 0
		.amdhsa_exception_fp_ieee_inexact 0
		.amdhsa_exception_int_div_zero 0
	.end_amdhsa_kernel
	.section	.text._Z17warp_store_kernelILj256ELj32ELj32ELN6hipcub18WarpStoreAlgorithmE2EiEvPT3_,"axG",@progbits,_Z17warp_store_kernelILj256ELj32ELj32ELN6hipcub18WarpStoreAlgorithmE2EiEvPT3_,comdat
.Lfunc_end14:
	.size	_Z17warp_store_kernelILj256ELj32ELj32ELN6hipcub18WarpStoreAlgorithmE2EiEvPT3_, .Lfunc_end14-_Z17warp_store_kernelILj256ELj32ELj32ELN6hipcub18WarpStoreAlgorithmE2EiEvPT3_
                                        ; -- End function
	.set _Z17warp_store_kernelILj256ELj32ELj32ELN6hipcub18WarpStoreAlgorithmE2EiEvPT3_.num_vgpr, 26
	.set _Z17warp_store_kernelILj256ELj32ELj32ELN6hipcub18WarpStoreAlgorithmE2EiEvPT3_.num_agpr, 0
	.set _Z17warp_store_kernelILj256ELj32ELj32ELN6hipcub18WarpStoreAlgorithmE2EiEvPT3_.numbered_sgpr, 5
	.set _Z17warp_store_kernelILj256ELj32ELj32ELN6hipcub18WarpStoreAlgorithmE2EiEvPT3_.num_named_barrier, 0
	.set _Z17warp_store_kernelILj256ELj32ELj32ELN6hipcub18WarpStoreAlgorithmE2EiEvPT3_.private_seg_size, 0
	.set _Z17warp_store_kernelILj256ELj32ELj32ELN6hipcub18WarpStoreAlgorithmE2EiEvPT3_.uses_vcc, 0
	.set _Z17warp_store_kernelILj256ELj32ELj32ELN6hipcub18WarpStoreAlgorithmE2EiEvPT3_.uses_flat_scratch, 0
	.set _Z17warp_store_kernelILj256ELj32ELj32ELN6hipcub18WarpStoreAlgorithmE2EiEvPT3_.has_dyn_sized_stack, 0
	.set _Z17warp_store_kernelILj256ELj32ELj32ELN6hipcub18WarpStoreAlgorithmE2EiEvPT3_.has_recursion, 0
	.set _Z17warp_store_kernelILj256ELj32ELj32ELN6hipcub18WarpStoreAlgorithmE2EiEvPT3_.has_indirect_call, 0
	.section	.AMDGPU.csdata,"",@progbits
; Kernel info:
; codeLenInByte = 348
; TotalNumSgprs: 5
; NumVgprs: 26
; ScratchSize: 0
; MemoryBound: 1
; FloatMode: 240
; IeeeMode: 1
; LDSByteSize: 0 bytes/workgroup (compile time only)
; SGPRBlocks: 0
; VGPRBlocks: 1
; NumSGPRsForWavesPerEU: 5
; NumVGPRsForWavesPerEU: 26
; NamedBarCnt: 0
; Occupancy: 16
; WaveLimiterHint : 1
; COMPUTE_PGM_RSRC2:SCRATCH_EN: 0
; COMPUTE_PGM_RSRC2:USER_SGPR: 2
; COMPUTE_PGM_RSRC2:TRAP_HANDLER: 0
; COMPUTE_PGM_RSRC2:TGID_X_EN: 1
; COMPUTE_PGM_RSRC2:TGID_Y_EN: 0
; COMPUTE_PGM_RSRC2:TGID_Z_EN: 0
; COMPUTE_PGM_RSRC2:TIDIG_COMP_CNT: 0
	.section	.text._Z17warp_store_kernelILj256ELj32ELj32ELN6hipcub18WarpStoreAlgorithmE3EiEvPT3_,"axG",@progbits,_Z17warp_store_kernelILj256ELj32ELj32ELN6hipcub18WarpStoreAlgorithmE3EiEvPT3_,comdat
	.protected	_Z17warp_store_kernelILj256ELj32ELj32ELN6hipcub18WarpStoreAlgorithmE3EiEvPT3_ ; -- Begin function _Z17warp_store_kernelILj256ELj32ELj32ELN6hipcub18WarpStoreAlgorithmE3EiEvPT3_
	.globl	_Z17warp_store_kernelILj256ELj32ELj32ELN6hipcub18WarpStoreAlgorithmE3EiEvPT3_
	.p2align	8
	.type	_Z17warp_store_kernelILj256ELj32ELj32ELN6hipcub18WarpStoreAlgorithmE3EiEvPT3_,@function
_Z17warp_store_kernelILj256ELj32ELj32ELN6hipcub18WarpStoreAlgorithmE3EiEvPT3_: ; @_Z17warp_store_kernelILj256ELj32ELj32ELN6hipcub18WarpStoreAlgorithmE3EiEvPT3_
; %bb.0:
	s_bfe_u32 s2, ttmp6, 0x4000c
	v_mbcnt_lo_u32_b32 v20, -1, 0
	s_add_co_i32 s2, s2, 1
	s_load_b64 s[0:1], s[0:1], 0x0
	s_and_b32 s3, ttmp6, 15
	s_mul_i32 s2, ttmp9, s2
	s_getreg_b32 s4, hwreg(HW_REG_IB_STS2, 6, 4)
	s_add_co_i32 s3, s3, s2
	s_cmp_eq_u32 s4, 0
	v_dual_mov_b32 v17, 0 :: v_dual_lshrrev_b32 v0, 5, v0
	v_dual_mov_b32 v2, 2 :: v_dual_lshlrev_b32 v1, 7, v20
	s_cselect_b32 s2, ttmp9, s3
	v_mov_b32_e32 v3, 3
	s_lshl_b32 s2, s2, 13
	s_delay_alu instid0(VALU_DEP_2)
	v_lshl_or_b32 v21, v0, 12, v1
	v_lshl_or_b32 v16, v0, 10, s2
	v_dual_mov_b32 v1, 1 :: v_dual_mov_b32 v0, v17
	v_dual_mov_b32 v4, 4 :: v_dual_mov_b32 v5, 5
	;; [unrolled: 1-line block ×7, first 2 shown]
	ds_store_b128 v21, v[0:3]
	ds_store_b128 v21, v[4:7] offset:16
	ds_store_b128 v21, v[8:11] offset:32
	;; [unrolled: 1-line block ×3, first 2 shown]
	v_dual_mov_b32 v0, 16 :: v_dual_mov_b32 v1, 17
	v_dual_mov_b32 v2, 18 :: v_dual_mov_b32 v3, 19
	;; [unrolled: 1-line block ×5, first 2 shown]
	v_mov_b32_e32 v12, 28
	v_mad_i32_i24 v22, 0xffffff84, v20, v21
	v_dual_mov_b32 v5, 21 :: v_dual_mov_b32 v6, 22
	v_dual_mov_b32 v13, 29 :: v_dual_mov_b32 v14, 30
	v_mov_b32_e32 v15, 31
	s_wait_kmcnt 0x0
	v_lshl_add_u64 v[18:19], v[16:17], 2, s[0:1]
	ds_store_b128 v21, v[0:3] offset:64
	ds_store_b128 v21, v[4:7] offset:80
	;; [unrolled: 1-line block ×4, first 2 shown]
	v_add_nc_u32_e32 v14, 0x400, v22
	v_add_nc_u32_e32 v24, 0x800, v22
	v_lshlrev_b32_e32 v16, 2, v20
	v_add_nc_u32_e32 v32, 0xc00, v22
	; wave barrier
	ds_load_2addr_b32 v[0:1], v22 offset1:32
	ds_load_2addr_b32 v[2:3], v22 offset0:64 offset1:96
	ds_load_2addr_b32 v[4:5], v22 offset0:128 offset1:160
	;; [unrolled: 1-line block ×3, first 2 shown]
	ds_load_2addr_b32 v[8:9], v14 offset1:32
	ds_load_2addr_b32 v[10:11], v14 offset0:64 offset1:96
	ds_load_2addr_b32 v[12:13], v14 offset0:128 offset1:160
	ds_load_2addr_b32 v[14:15], v14 offset0:192 offset1:224
	ds_load_2addr_b32 v[20:21], v24 offset1:32
	ds_load_2addr_b32 v[22:23], v24 offset0:64 offset1:96
	v_add_nc_u64_e32 v[16:17], v[18:19], v[16:17]
	ds_load_2addr_b32 v[18:19], v24 offset0:128 offset1:160
	ds_load_2addr_b32 v[24:25], v24 offset0:192 offset1:224
	ds_load_2addr_b32 v[26:27], v32 offset1:32
	ds_load_2addr_b32 v[28:29], v32 offset0:64 offset1:96
	ds_load_2addr_b32 v[30:31], v32 offset0:128 offset1:160
	;; [unrolled: 1-line block ×3, first 2 shown]
	s_wait_dscnt 0xf
	s_clause 0x1
	global_store_b32 v[16:17], v0, off
	global_store_b32 v[16:17], v1, off offset:128
	s_wait_dscnt 0xe
	s_clause 0x1
	global_store_b32 v[16:17], v2, off offset:256
	global_store_b32 v[16:17], v3, off offset:384
	s_wait_dscnt 0xd
	s_clause 0x1
	global_store_b32 v[16:17], v4, off offset:512
	;; [unrolled: 4-line block ×15, first 2 shown]
	global_store_b32 v[16:17], v33, off offset:3968
	s_endpgm
	.section	.rodata,"a",@progbits
	.p2align	6, 0x0
	.amdhsa_kernel _Z17warp_store_kernelILj256ELj32ELj32ELN6hipcub18WarpStoreAlgorithmE3EiEvPT3_
		.amdhsa_group_segment_fixed_size 32768
		.amdhsa_private_segment_fixed_size 0
		.amdhsa_kernarg_size 8
		.amdhsa_user_sgpr_count 2
		.amdhsa_user_sgpr_dispatch_ptr 0
		.amdhsa_user_sgpr_queue_ptr 0
		.amdhsa_user_sgpr_kernarg_segment_ptr 1
		.amdhsa_user_sgpr_dispatch_id 0
		.amdhsa_user_sgpr_kernarg_preload_length 0
		.amdhsa_user_sgpr_kernarg_preload_offset 0
		.amdhsa_user_sgpr_private_segment_size 0
		.amdhsa_wavefront_size32 1
		.amdhsa_uses_dynamic_stack 0
		.amdhsa_enable_private_segment 0
		.amdhsa_system_sgpr_workgroup_id_x 1
		.amdhsa_system_sgpr_workgroup_id_y 0
		.amdhsa_system_sgpr_workgroup_id_z 0
		.amdhsa_system_sgpr_workgroup_info 0
		.amdhsa_system_vgpr_workitem_id 0
		.amdhsa_next_free_vgpr 34
		.amdhsa_next_free_sgpr 5
		.amdhsa_named_barrier_count 0
		.amdhsa_reserve_vcc 0
		.amdhsa_float_round_mode_32 0
		.amdhsa_float_round_mode_16_64 0
		.amdhsa_float_denorm_mode_32 3
		.amdhsa_float_denorm_mode_16_64 3
		.amdhsa_fp16_overflow 0
		.amdhsa_memory_ordered 1
		.amdhsa_forward_progress 1
		.amdhsa_inst_pref_size 8
		.amdhsa_round_robin_scheduling 0
		.amdhsa_exception_fp_ieee_invalid_op 0
		.amdhsa_exception_fp_denorm_src 0
		.amdhsa_exception_fp_ieee_div_zero 0
		.amdhsa_exception_fp_ieee_overflow 0
		.amdhsa_exception_fp_ieee_underflow 0
		.amdhsa_exception_fp_ieee_inexact 0
		.amdhsa_exception_int_div_zero 0
	.end_amdhsa_kernel
	.section	.text._Z17warp_store_kernelILj256ELj32ELj32ELN6hipcub18WarpStoreAlgorithmE3EiEvPT3_,"axG",@progbits,_Z17warp_store_kernelILj256ELj32ELj32ELN6hipcub18WarpStoreAlgorithmE3EiEvPT3_,comdat
.Lfunc_end15:
	.size	_Z17warp_store_kernelILj256ELj32ELj32ELN6hipcub18WarpStoreAlgorithmE3EiEvPT3_, .Lfunc_end15-_Z17warp_store_kernelILj256ELj32ELj32ELN6hipcub18WarpStoreAlgorithmE3EiEvPT3_
                                        ; -- End function
	.set _Z17warp_store_kernelILj256ELj32ELj32ELN6hipcub18WarpStoreAlgorithmE3EiEvPT3_.num_vgpr, 34
	.set _Z17warp_store_kernelILj256ELj32ELj32ELN6hipcub18WarpStoreAlgorithmE3EiEvPT3_.num_agpr, 0
	.set _Z17warp_store_kernelILj256ELj32ELj32ELN6hipcub18WarpStoreAlgorithmE3EiEvPT3_.numbered_sgpr, 5
	.set _Z17warp_store_kernelILj256ELj32ELj32ELN6hipcub18WarpStoreAlgorithmE3EiEvPT3_.num_named_barrier, 0
	.set _Z17warp_store_kernelILj256ELj32ELj32ELN6hipcub18WarpStoreAlgorithmE3EiEvPT3_.private_seg_size, 0
	.set _Z17warp_store_kernelILj256ELj32ELj32ELN6hipcub18WarpStoreAlgorithmE3EiEvPT3_.uses_vcc, 0
	.set _Z17warp_store_kernelILj256ELj32ELj32ELN6hipcub18WarpStoreAlgorithmE3EiEvPT3_.uses_flat_scratch, 0
	.set _Z17warp_store_kernelILj256ELj32ELj32ELN6hipcub18WarpStoreAlgorithmE3EiEvPT3_.has_dyn_sized_stack, 0
	.set _Z17warp_store_kernelILj256ELj32ELj32ELN6hipcub18WarpStoreAlgorithmE3EiEvPT3_.has_recursion, 0
	.set _Z17warp_store_kernelILj256ELj32ELj32ELN6hipcub18WarpStoreAlgorithmE3EiEvPT3_.has_indirect_call, 0
	.section	.AMDGPU.csdata,"",@progbits
; Kernel info:
; codeLenInByte = 980
; TotalNumSgprs: 5
; NumVgprs: 34
; ScratchSize: 0
; MemoryBound: 1
; FloatMode: 240
; IeeeMode: 1
; LDSByteSize: 32768 bytes/workgroup (compile time only)
; SGPRBlocks: 0
; VGPRBlocks: 2
; NumSGPRsForWavesPerEU: 5
; NumVGPRsForWavesPerEU: 34
; NamedBarCnt: 0
; Occupancy: 16
; WaveLimiterHint : 1
; COMPUTE_PGM_RSRC2:SCRATCH_EN: 0
; COMPUTE_PGM_RSRC2:USER_SGPR: 2
; COMPUTE_PGM_RSRC2:TRAP_HANDLER: 0
; COMPUTE_PGM_RSRC2:TGID_X_EN: 1
; COMPUTE_PGM_RSRC2:TGID_Y_EN: 0
; COMPUTE_PGM_RSRC2:TGID_Z_EN: 0
; COMPUTE_PGM_RSRC2:TIDIG_COMP_CNT: 0
	.section	.text._Z17warp_store_kernelILj256ELj64ELj32ELN6hipcub18WarpStoreAlgorithmE0EiEvPT3_,"axG",@progbits,_Z17warp_store_kernelILj256ELj64ELj32ELN6hipcub18WarpStoreAlgorithmE0EiEvPT3_,comdat
	.protected	_Z17warp_store_kernelILj256ELj64ELj32ELN6hipcub18WarpStoreAlgorithmE0EiEvPT3_ ; -- Begin function _Z17warp_store_kernelILj256ELj64ELj32ELN6hipcub18WarpStoreAlgorithmE0EiEvPT3_
	.globl	_Z17warp_store_kernelILj256ELj64ELj32ELN6hipcub18WarpStoreAlgorithmE0EiEvPT3_
	.p2align	8
	.type	_Z17warp_store_kernelILj256ELj64ELj32ELN6hipcub18WarpStoreAlgorithmE0EiEvPT3_,@function
_Z17warp_store_kernelILj256ELj64ELj32ELN6hipcub18WarpStoreAlgorithmE0EiEvPT3_: ; @_Z17warp_store_kernelILj256ELj64ELj32ELN6hipcub18WarpStoreAlgorithmE0EiEvPT3_
; %bb.0:
	s_load_b64 s[0:1], s[0:1], 0x0
	s_bfe_u32 s2, ttmp6, 0x4000c
	s_and_b32 s3, ttmp6, 15
	s_add_co_i32 s2, s2, 1
	s_getreg_b32 s4, hwreg(HW_REG_IB_STS2, 6, 4)
	s_mul_i32 s2, ttmp9, s2
	v_dual_mov_b32 v11, 0 :: v_dual_lshlrev_b32 v0, 6, v0
	s_add_co_i32 s3, s3, s2
	s_cmp_eq_u32 s4, 0
	v_mbcnt_lo_u32_b32 v6, -1, 0
	s_cselect_b32 s2, ttmp9, s3
	v_mov_b32_e32 v5, 5
	s_lshl_b32 s2, s2, 14
	v_dual_mov_b32 v1, 1 :: v_dual_mov_b32 v2, 2
	v_and_or_b32 v10, 0x3800, v0, s2
	v_dual_mov_b32 v3, 3 :: v_dual_mov_b32 v4, 4
	v_dual_mov_b32 v8, 8 :: v_dual_mov_b32 v0, v11
	s_wait_kmcnt 0x0
	s_delay_alu instid0(VALU_DEP_3) | instskip(SKIP_3) | instid1(VALU_DEP_3)
	v_lshl_add_u64 v[12:13], v[10:11], 2, s[0:1]
	v_dual_lshlrev_b32 v10, 8, v6 :: v_dual_mov_b32 v6, 6
	v_dual_mov_b32 v7, 7 :: v_dual_mov_b32 v9, 9
	v_mov_b32_e32 v14, 14
	v_add_nc_u64_e32 v[24:25], v[12:13], v[10:11]
	v_dual_mov_b32 v10, 10 :: v_dual_mov_b32 v11, 11
	v_dual_mov_b32 v12, 12 :: v_dual_mov_b32 v13, 13
	v_mov_b32_e32 v15, 15
	s_clause 0x3
	global_store_b128 v[24:25], v[0:3], off
	global_store_b128 v[24:25], v[4:7], off offset:16
	global_store_b128 v[24:25], v[8:11], off offset:32
	;; [unrolled: 1-line block ×3, first 2 shown]
	s_wait_xcnt 0x3
	v_dual_mov_b32 v0, 16 :: v_dual_mov_b32 v1, 17
	v_dual_mov_b32 v2, 18 :: v_dual_mov_b32 v3, 19
	s_wait_xcnt 0x2
	v_dual_mov_b32 v4, 20 :: v_dual_mov_b32 v5, 21
	v_dual_mov_b32 v6, 22 :: v_dual_mov_b32 v7, 23
	s_wait_xcnt 0x1
	v_dual_mov_b32 v8, 24 :: v_dual_mov_b32 v9, 25
	v_dual_mov_b32 v10, 26 :: v_dual_mov_b32 v11, 27
	s_wait_xcnt 0x0
	v_dual_mov_b32 v12, 28 :: v_dual_mov_b32 v13, 29
	v_dual_mov_b32 v14, 30 :: v_dual_mov_b32 v15, 31
	v_dual_mov_b32 v16, 32 :: v_dual_mov_b32 v17, 33
	v_dual_mov_b32 v18, 34 :: v_dual_mov_b32 v19, 35
	;; [unrolled: 1-line block ×4, first 2 shown]
	s_clause 0x5
	global_store_b128 v[24:25], v[0:3], off offset:64
	global_store_b128 v[24:25], v[4:7], off offset:80
	;; [unrolled: 1-line block ×6, first 2 shown]
	s_wait_xcnt 0x5
	v_dual_mov_b32 v0, 40 :: v_dual_mov_b32 v1, 41
	v_dual_mov_b32 v2, 42 :: v_dual_mov_b32 v3, 43
	s_wait_xcnt 0x4
	v_dual_mov_b32 v4, 44 :: v_dual_mov_b32 v5, 45
	v_dual_mov_b32 v6, 46 :: v_dual_mov_b32 v7, 47
	;; [unrolled: 3-line block ×6, first 2 shown]
	s_clause 0x5
	global_store_b128 v[24:25], v[0:3], off offset:160
	global_store_b128 v[24:25], v[4:7], off offset:176
	;; [unrolled: 1-line block ×6, first 2 shown]
	s_endpgm
	.section	.rodata,"a",@progbits
	.p2align	6, 0x0
	.amdhsa_kernel _Z17warp_store_kernelILj256ELj64ELj32ELN6hipcub18WarpStoreAlgorithmE0EiEvPT3_
		.amdhsa_group_segment_fixed_size 0
		.amdhsa_private_segment_fixed_size 0
		.amdhsa_kernarg_size 8
		.amdhsa_user_sgpr_count 2
		.amdhsa_user_sgpr_dispatch_ptr 0
		.amdhsa_user_sgpr_queue_ptr 0
		.amdhsa_user_sgpr_kernarg_segment_ptr 1
		.amdhsa_user_sgpr_dispatch_id 0
		.amdhsa_user_sgpr_kernarg_preload_length 0
		.amdhsa_user_sgpr_kernarg_preload_offset 0
		.amdhsa_user_sgpr_private_segment_size 0
		.amdhsa_wavefront_size32 1
		.amdhsa_uses_dynamic_stack 0
		.amdhsa_enable_private_segment 0
		.amdhsa_system_sgpr_workgroup_id_x 1
		.amdhsa_system_sgpr_workgroup_id_y 0
		.amdhsa_system_sgpr_workgroup_id_z 0
		.amdhsa_system_sgpr_workgroup_info 0
		.amdhsa_system_vgpr_workitem_id 0
		.amdhsa_next_free_vgpr 26
		.amdhsa_next_free_sgpr 5
		.amdhsa_named_barrier_count 0
		.amdhsa_reserve_vcc 0
		.amdhsa_float_round_mode_32 0
		.amdhsa_float_round_mode_16_64 0
		.amdhsa_float_denorm_mode_32 3
		.amdhsa_float_denorm_mode_16_64 3
		.amdhsa_fp16_overflow 0
		.amdhsa_memory_ordered 1
		.amdhsa_forward_progress 1
		.amdhsa_inst_pref_size 5
		.amdhsa_round_robin_scheduling 0
		.amdhsa_exception_fp_ieee_invalid_op 0
		.amdhsa_exception_fp_denorm_src 0
		.amdhsa_exception_fp_ieee_div_zero 0
		.amdhsa_exception_fp_ieee_overflow 0
		.amdhsa_exception_fp_ieee_underflow 0
		.amdhsa_exception_fp_ieee_inexact 0
		.amdhsa_exception_int_div_zero 0
	.end_amdhsa_kernel
	.section	.text._Z17warp_store_kernelILj256ELj64ELj32ELN6hipcub18WarpStoreAlgorithmE0EiEvPT3_,"axG",@progbits,_Z17warp_store_kernelILj256ELj64ELj32ELN6hipcub18WarpStoreAlgorithmE0EiEvPT3_,comdat
.Lfunc_end16:
	.size	_Z17warp_store_kernelILj256ELj64ELj32ELN6hipcub18WarpStoreAlgorithmE0EiEvPT3_, .Lfunc_end16-_Z17warp_store_kernelILj256ELj64ELj32ELN6hipcub18WarpStoreAlgorithmE0EiEvPT3_
                                        ; -- End function
	.set _Z17warp_store_kernelILj256ELj64ELj32ELN6hipcub18WarpStoreAlgorithmE0EiEvPT3_.num_vgpr, 26
	.set _Z17warp_store_kernelILj256ELj64ELj32ELN6hipcub18WarpStoreAlgorithmE0EiEvPT3_.num_agpr, 0
	.set _Z17warp_store_kernelILj256ELj64ELj32ELN6hipcub18WarpStoreAlgorithmE0EiEvPT3_.numbered_sgpr, 5
	.set _Z17warp_store_kernelILj256ELj64ELj32ELN6hipcub18WarpStoreAlgorithmE0EiEvPT3_.num_named_barrier, 0
	.set _Z17warp_store_kernelILj256ELj64ELj32ELN6hipcub18WarpStoreAlgorithmE0EiEvPT3_.private_seg_size, 0
	.set _Z17warp_store_kernelILj256ELj64ELj32ELN6hipcub18WarpStoreAlgorithmE0EiEvPT3_.uses_vcc, 0
	.set _Z17warp_store_kernelILj256ELj64ELj32ELN6hipcub18WarpStoreAlgorithmE0EiEvPT3_.uses_flat_scratch, 0
	.set _Z17warp_store_kernelILj256ELj64ELj32ELN6hipcub18WarpStoreAlgorithmE0EiEvPT3_.has_dyn_sized_stack, 0
	.set _Z17warp_store_kernelILj256ELj64ELj32ELN6hipcub18WarpStoreAlgorithmE0EiEvPT3_.has_recursion, 0
	.set _Z17warp_store_kernelILj256ELj64ELj32ELN6hipcub18WarpStoreAlgorithmE0EiEvPT3_.has_indirect_call, 0
	.section	.AMDGPU.csdata,"",@progbits
; Kernel info:
; codeLenInByte = 616
; TotalNumSgprs: 5
; NumVgprs: 26
; ScratchSize: 0
; MemoryBound: 1
; FloatMode: 240
; IeeeMode: 1
; LDSByteSize: 0 bytes/workgroup (compile time only)
; SGPRBlocks: 0
; VGPRBlocks: 1
; NumSGPRsForWavesPerEU: 5
; NumVGPRsForWavesPerEU: 26
; NamedBarCnt: 0
; Occupancy: 16
; WaveLimiterHint : 1
; COMPUTE_PGM_RSRC2:SCRATCH_EN: 0
; COMPUTE_PGM_RSRC2:USER_SGPR: 2
; COMPUTE_PGM_RSRC2:TRAP_HANDLER: 0
; COMPUTE_PGM_RSRC2:TGID_X_EN: 1
; COMPUTE_PGM_RSRC2:TGID_Y_EN: 0
; COMPUTE_PGM_RSRC2:TGID_Z_EN: 0
; COMPUTE_PGM_RSRC2:TIDIG_COMP_CNT: 0
	.section	.text._Z17warp_store_kernelILj256ELj64ELj32ELN6hipcub18WarpStoreAlgorithmE1EiEvPT3_,"axG",@progbits,_Z17warp_store_kernelILj256ELj64ELj32ELN6hipcub18WarpStoreAlgorithmE1EiEvPT3_,comdat
	.protected	_Z17warp_store_kernelILj256ELj64ELj32ELN6hipcub18WarpStoreAlgorithmE1EiEvPT3_ ; -- Begin function _Z17warp_store_kernelILj256ELj64ELj32ELN6hipcub18WarpStoreAlgorithmE1EiEvPT3_
	.globl	_Z17warp_store_kernelILj256ELj64ELj32ELN6hipcub18WarpStoreAlgorithmE1EiEvPT3_
	.p2align	8
	.type	_Z17warp_store_kernelILj256ELj64ELj32ELN6hipcub18WarpStoreAlgorithmE1EiEvPT3_,@function
_Z17warp_store_kernelILj256ELj64ELj32ELN6hipcub18WarpStoreAlgorithmE1EiEvPT3_: ; @_Z17warp_store_kernelILj256ELj64ELj32ELN6hipcub18WarpStoreAlgorithmE1EiEvPT3_
; %bb.0:
	s_load_b64 s[0:1], s[0:1], 0x0
	s_bfe_u32 s2, ttmp6, 0x4000c
	s_and_b32 s3, ttmp6, 15
	s_add_co_i32 s2, s2, 1
	s_getreg_b32 s4, hwreg(HW_REG_IB_STS2, 6, 4)
	s_mul_i32 s2, ttmp9, s2
	v_dual_mov_b32 v1, 0 :: v_dual_lshlrev_b32 v0, 6, v0
	s_add_co_i32 s3, s3, s2
	s_cmp_eq_u32 s4, 0
	v_mbcnt_lo_u32_b32 v4, -1, 0
	s_cselect_b32 s2, ttmp9, s3
	v_mov_b32_e32 v5, 2
	s_lshl_b32 s2, s2, 14
	v_dual_mov_b32 v6, 3 :: v_dual_mov_b32 v7, 4
	v_and_or_b32 v0, 0x3800, v0, s2
	v_dual_mov_b32 v10, 8 :: v_dual_mov_b32 v8, 5
	v_mov_b32_e32 v9, 7
	s_wait_kmcnt 0x0
	s_delay_alu instid0(VALU_DEP_3) | instskip(SKIP_1) | instid1(VALU_DEP_1)
	v_lshl_add_u64 v[2:3], v[0:1], 2, s[0:1]
	v_dual_lshlrev_b32 v0, 2, v4 :: v_dual_mov_b32 v4, 6
	v_add_nc_u64_e32 v[2:3], v[2:3], v[0:1]
	v_mov_b32_e32 v0, 1
	s_clause 0x7
	global_store_b32 v[2:3], v1, off
	global_store_b32 v[2:3], v0, off offset:128
	global_store_b32 v[2:3], v5, off offset:256
	;; [unrolled: 1-line block ×7, first 2 shown]
	s_wait_xcnt 0x6
	v_dual_mov_b32 v0, 9 :: v_dual_mov_b32 v1, 10
	s_wait_xcnt 0x1
	v_dual_mov_b32 v4, 11 :: v_dual_mov_b32 v5, 12
	v_dual_mov_b32 v6, 13 :: v_dual_mov_b32 v7, 14
	v_mov_b32_e32 v8, 15
	s_clause 0x7
	global_store_b32 v[2:3], v10, off offset:1024
	global_store_b32 v[2:3], v0, off offset:1152
	global_store_b32 v[2:3], v1, off offset:1280
	global_store_b32 v[2:3], v4, off offset:1408
	global_store_b32 v[2:3], v5, off offset:1536
	global_store_b32 v[2:3], v6, off offset:1664
	global_store_b32 v[2:3], v7, off offset:1792
	global_store_b32 v[2:3], v8, off offset:1920
	s_wait_xcnt 0x5
	v_dual_mov_b32 v0, 16 :: v_dual_mov_b32 v1, 17
	s_wait_xcnt 0x3
	v_dual_mov_b32 v4, 18 :: v_dual_mov_b32 v5, 19
	s_wait_xcnt 0x1
	v_dual_mov_b32 v6, 20 :: v_dual_mov_b32 v7, 21
	s_wait_xcnt 0x0
	v_dual_mov_b32 v8, 22 :: v_dual_mov_b32 v9, 23
	s_clause 0x7
	global_store_b32 v[2:3], v0, off offset:2048
	global_store_b32 v[2:3], v1, off offset:2176
	global_store_b32 v[2:3], v4, off offset:2304
	global_store_b32 v[2:3], v5, off offset:2432
	global_store_b32 v[2:3], v6, off offset:2560
	global_store_b32 v[2:3], v7, off offset:2688
	global_store_b32 v[2:3], v8, off offset:2816
	global_store_b32 v[2:3], v9, off offset:2944
	s_wait_xcnt 0x6
	v_dual_mov_b32 v0, 24 :: v_dual_mov_b32 v1, 25
	s_wait_xcnt 0x4
	v_dual_mov_b32 v4, 26 :: v_dual_mov_b32 v5, 27
	s_wait_xcnt 0x2
	v_dual_mov_b32 v6, 28 :: v_dual_mov_b32 v7, 29
	s_wait_xcnt 0x0
	v_dual_mov_b32 v8, 30 :: v_dual_mov_b32 v9, 31
	;; [unrolled: 17-line block ×6, first 2 shown]
	s_clause 0x7
	global_store_b32 v[2:3], v0, off offset:7168
	global_store_b32 v[2:3], v1, off offset:7296
	;; [unrolled: 1-line block ×8, first 2 shown]
	s_endpgm
	.section	.rodata,"a",@progbits
	.p2align	6, 0x0
	.amdhsa_kernel _Z17warp_store_kernelILj256ELj64ELj32ELN6hipcub18WarpStoreAlgorithmE1EiEvPT3_
		.amdhsa_group_segment_fixed_size 0
		.amdhsa_private_segment_fixed_size 0
		.amdhsa_kernarg_size 8
		.amdhsa_user_sgpr_count 2
		.amdhsa_user_sgpr_dispatch_ptr 0
		.amdhsa_user_sgpr_queue_ptr 0
		.amdhsa_user_sgpr_kernarg_segment_ptr 1
		.amdhsa_user_sgpr_dispatch_id 0
		.amdhsa_user_sgpr_kernarg_preload_length 0
		.amdhsa_user_sgpr_kernarg_preload_offset 0
		.amdhsa_user_sgpr_private_segment_size 0
		.amdhsa_wavefront_size32 1
		.amdhsa_uses_dynamic_stack 0
		.amdhsa_enable_private_segment 0
		.amdhsa_system_sgpr_workgroup_id_x 1
		.amdhsa_system_sgpr_workgroup_id_y 0
		.amdhsa_system_sgpr_workgroup_id_z 0
		.amdhsa_system_sgpr_workgroup_info 0
		.amdhsa_system_vgpr_workitem_id 0
		.amdhsa_next_free_vgpr 11
		.amdhsa_next_free_sgpr 5
		.amdhsa_named_barrier_count 0
		.amdhsa_reserve_vcc 0
		.amdhsa_float_round_mode_32 0
		.amdhsa_float_round_mode_16_64 0
		.amdhsa_float_denorm_mode_32 3
		.amdhsa_float_denorm_mode_16_64 3
		.amdhsa_fp16_overflow 0
		.amdhsa_memory_ordered 1
		.amdhsa_forward_progress 1
		.amdhsa_inst_pref_size 10
		.amdhsa_round_robin_scheduling 0
		.amdhsa_exception_fp_ieee_invalid_op 0
		.amdhsa_exception_fp_denorm_src 0
		.amdhsa_exception_fp_ieee_div_zero 0
		.amdhsa_exception_fp_ieee_overflow 0
		.amdhsa_exception_fp_ieee_underflow 0
		.amdhsa_exception_fp_ieee_inexact 0
		.amdhsa_exception_int_div_zero 0
	.end_amdhsa_kernel
	.section	.text._Z17warp_store_kernelILj256ELj64ELj32ELN6hipcub18WarpStoreAlgorithmE1EiEvPT3_,"axG",@progbits,_Z17warp_store_kernelILj256ELj64ELj32ELN6hipcub18WarpStoreAlgorithmE1EiEvPT3_,comdat
.Lfunc_end17:
	.size	_Z17warp_store_kernelILj256ELj64ELj32ELN6hipcub18WarpStoreAlgorithmE1EiEvPT3_, .Lfunc_end17-_Z17warp_store_kernelILj256ELj64ELj32ELN6hipcub18WarpStoreAlgorithmE1EiEvPT3_
                                        ; -- End function
	.set _Z17warp_store_kernelILj256ELj64ELj32ELN6hipcub18WarpStoreAlgorithmE1EiEvPT3_.num_vgpr, 11
	.set _Z17warp_store_kernelILj256ELj64ELj32ELN6hipcub18WarpStoreAlgorithmE1EiEvPT3_.num_agpr, 0
	.set _Z17warp_store_kernelILj256ELj64ELj32ELN6hipcub18WarpStoreAlgorithmE1EiEvPT3_.numbered_sgpr, 5
	.set _Z17warp_store_kernelILj256ELj64ELj32ELN6hipcub18WarpStoreAlgorithmE1EiEvPT3_.num_named_barrier, 0
	.set _Z17warp_store_kernelILj256ELj64ELj32ELN6hipcub18WarpStoreAlgorithmE1EiEvPT3_.private_seg_size, 0
	.set _Z17warp_store_kernelILj256ELj64ELj32ELN6hipcub18WarpStoreAlgorithmE1EiEvPT3_.uses_vcc, 0
	.set _Z17warp_store_kernelILj256ELj64ELj32ELN6hipcub18WarpStoreAlgorithmE1EiEvPT3_.uses_flat_scratch, 0
	.set _Z17warp_store_kernelILj256ELj64ELj32ELN6hipcub18WarpStoreAlgorithmE1EiEvPT3_.has_dyn_sized_stack, 0
	.set _Z17warp_store_kernelILj256ELj64ELj32ELN6hipcub18WarpStoreAlgorithmE1EiEvPT3_.has_recursion, 0
	.set _Z17warp_store_kernelILj256ELj64ELj32ELN6hipcub18WarpStoreAlgorithmE1EiEvPT3_.has_indirect_call, 0
	.section	.AMDGPU.csdata,"",@progbits
; Kernel info:
; codeLenInByte = 1268
; TotalNumSgprs: 5
; NumVgprs: 11
; ScratchSize: 0
; MemoryBound: 1
; FloatMode: 240
; IeeeMode: 1
; LDSByteSize: 0 bytes/workgroup (compile time only)
; SGPRBlocks: 0
; VGPRBlocks: 0
; NumSGPRsForWavesPerEU: 5
; NumVGPRsForWavesPerEU: 11
; NamedBarCnt: 0
; Occupancy: 16
; WaveLimiterHint : 1
; COMPUTE_PGM_RSRC2:SCRATCH_EN: 0
; COMPUTE_PGM_RSRC2:USER_SGPR: 2
; COMPUTE_PGM_RSRC2:TRAP_HANDLER: 0
; COMPUTE_PGM_RSRC2:TGID_X_EN: 1
; COMPUTE_PGM_RSRC2:TGID_Y_EN: 0
; COMPUTE_PGM_RSRC2:TGID_Z_EN: 0
; COMPUTE_PGM_RSRC2:TIDIG_COMP_CNT: 0
	.section	.text._Z17warp_store_kernelILj256ELj64ELj32ELN6hipcub18WarpStoreAlgorithmE2EiEvPT3_,"axG",@progbits,_Z17warp_store_kernelILj256ELj64ELj32ELN6hipcub18WarpStoreAlgorithmE2EiEvPT3_,comdat
	.protected	_Z17warp_store_kernelILj256ELj64ELj32ELN6hipcub18WarpStoreAlgorithmE2EiEvPT3_ ; -- Begin function _Z17warp_store_kernelILj256ELj64ELj32ELN6hipcub18WarpStoreAlgorithmE2EiEvPT3_
	.globl	_Z17warp_store_kernelILj256ELj64ELj32ELN6hipcub18WarpStoreAlgorithmE2EiEvPT3_
	.p2align	8
	.type	_Z17warp_store_kernelILj256ELj64ELj32ELN6hipcub18WarpStoreAlgorithmE2EiEvPT3_,@function
_Z17warp_store_kernelILj256ELj64ELj32ELN6hipcub18WarpStoreAlgorithmE2EiEvPT3_: ; @_Z17warp_store_kernelILj256ELj64ELj32ELN6hipcub18WarpStoreAlgorithmE2EiEvPT3_
; %bb.0:
	s_load_b64 s[0:1], s[0:1], 0x0
	s_bfe_u32 s2, ttmp6, 0x4000c
	s_and_b32 s3, ttmp6, 15
	s_add_co_i32 s2, s2, 1
	s_getreg_b32 s4, hwreg(HW_REG_IB_STS2, 6, 4)
	s_mul_i32 s2, ttmp9, s2
	v_dual_mov_b32 v11, 0 :: v_dual_lshlrev_b32 v0, 6, v0
	s_add_co_i32 s3, s3, s2
	s_cmp_eq_u32 s4, 0
	v_mbcnt_lo_u32_b32 v6, -1, 0
	s_cselect_b32 s2, ttmp9, s3
	v_mov_b32_e32 v5, 5
	s_lshl_b32 s2, s2, 14
	v_dual_mov_b32 v1, 1 :: v_dual_mov_b32 v2, 2
	v_and_or_b32 v10, 0x3800, v0, s2
	v_dual_mov_b32 v3, 3 :: v_dual_mov_b32 v4, 4
	v_dual_mov_b32 v8, 8 :: v_dual_mov_b32 v0, v11
	s_wait_kmcnt 0x0
	s_delay_alu instid0(VALU_DEP_3) | instskip(SKIP_3) | instid1(VALU_DEP_3)
	v_lshl_add_u64 v[12:13], v[10:11], 2, s[0:1]
	v_dual_lshlrev_b32 v10, 8, v6 :: v_dual_mov_b32 v6, 6
	v_dual_mov_b32 v7, 7 :: v_dual_mov_b32 v9, 9
	v_mov_b32_e32 v14, 14
	v_add_nc_u64_e32 v[24:25], v[12:13], v[10:11]
	v_dual_mov_b32 v10, 10 :: v_dual_mov_b32 v11, 11
	v_dual_mov_b32 v12, 12 :: v_dual_mov_b32 v13, 13
	v_mov_b32_e32 v15, 15
	s_clause 0x3
	global_store_b128 v[24:25], v[0:3], off
	global_store_b128 v[24:25], v[4:7], off offset:16
	global_store_b128 v[24:25], v[8:11], off offset:32
	global_store_b128 v[24:25], v[12:15], off offset:48
	s_wait_xcnt 0x3
	v_dual_mov_b32 v0, 16 :: v_dual_mov_b32 v1, 17
	v_dual_mov_b32 v2, 18 :: v_dual_mov_b32 v3, 19
	s_wait_xcnt 0x2
	v_dual_mov_b32 v4, 20 :: v_dual_mov_b32 v5, 21
	v_dual_mov_b32 v6, 22 :: v_dual_mov_b32 v7, 23
	;; [unrolled: 3-line block ×4, first 2 shown]
	v_dual_mov_b32 v16, 32 :: v_dual_mov_b32 v17, 33
	v_dual_mov_b32 v18, 34 :: v_dual_mov_b32 v19, 35
	;; [unrolled: 1-line block ×4, first 2 shown]
	s_clause 0x5
	global_store_b128 v[24:25], v[0:3], off offset:64
	global_store_b128 v[24:25], v[4:7], off offset:80
	;; [unrolled: 1-line block ×6, first 2 shown]
	s_wait_xcnt 0x5
	v_dual_mov_b32 v0, 40 :: v_dual_mov_b32 v1, 41
	v_dual_mov_b32 v2, 42 :: v_dual_mov_b32 v3, 43
	s_wait_xcnt 0x4
	v_dual_mov_b32 v4, 44 :: v_dual_mov_b32 v5, 45
	v_dual_mov_b32 v6, 46 :: v_dual_mov_b32 v7, 47
	;; [unrolled: 3-line block ×6, first 2 shown]
	s_clause 0x5
	global_store_b128 v[24:25], v[0:3], off offset:160
	global_store_b128 v[24:25], v[4:7], off offset:176
	;; [unrolled: 1-line block ×6, first 2 shown]
	s_endpgm
	.section	.rodata,"a",@progbits
	.p2align	6, 0x0
	.amdhsa_kernel _Z17warp_store_kernelILj256ELj64ELj32ELN6hipcub18WarpStoreAlgorithmE2EiEvPT3_
		.amdhsa_group_segment_fixed_size 0
		.amdhsa_private_segment_fixed_size 0
		.amdhsa_kernarg_size 8
		.amdhsa_user_sgpr_count 2
		.amdhsa_user_sgpr_dispatch_ptr 0
		.amdhsa_user_sgpr_queue_ptr 0
		.amdhsa_user_sgpr_kernarg_segment_ptr 1
		.amdhsa_user_sgpr_dispatch_id 0
		.amdhsa_user_sgpr_kernarg_preload_length 0
		.amdhsa_user_sgpr_kernarg_preload_offset 0
		.amdhsa_user_sgpr_private_segment_size 0
		.amdhsa_wavefront_size32 1
		.amdhsa_uses_dynamic_stack 0
		.amdhsa_enable_private_segment 0
		.amdhsa_system_sgpr_workgroup_id_x 1
		.amdhsa_system_sgpr_workgroup_id_y 0
		.amdhsa_system_sgpr_workgroup_id_z 0
		.amdhsa_system_sgpr_workgroup_info 0
		.amdhsa_system_vgpr_workitem_id 0
		.amdhsa_next_free_vgpr 26
		.amdhsa_next_free_sgpr 5
		.amdhsa_named_barrier_count 0
		.amdhsa_reserve_vcc 0
		.amdhsa_float_round_mode_32 0
		.amdhsa_float_round_mode_16_64 0
		.amdhsa_float_denorm_mode_32 3
		.amdhsa_float_denorm_mode_16_64 3
		.amdhsa_fp16_overflow 0
		.amdhsa_memory_ordered 1
		.amdhsa_forward_progress 1
		.amdhsa_inst_pref_size 5
		.amdhsa_round_robin_scheduling 0
		.amdhsa_exception_fp_ieee_invalid_op 0
		.amdhsa_exception_fp_denorm_src 0
		.amdhsa_exception_fp_ieee_div_zero 0
		.amdhsa_exception_fp_ieee_overflow 0
		.amdhsa_exception_fp_ieee_underflow 0
		.amdhsa_exception_fp_ieee_inexact 0
		.amdhsa_exception_int_div_zero 0
	.end_amdhsa_kernel
	.section	.text._Z17warp_store_kernelILj256ELj64ELj32ELN6hipcub18WarpStoreAlgorithmE2EiEvPT3_,"axG",@progbits,_Z17warp_store_kernelILj256ELj64ELj32ELN6hipcub18WarpStoreAlgorithmE2EiEvPT3_,comdat
.Lfunc_end18:
	.size	_Z17warp_store_kernelILj256ELj64ELj32ELN6hipcub18WarpStoreAlgorithmE2EiEvPT3_, .Lfunc_end18-_Z17warp_store_kernelILj256ELj64ELj32ELN6hipcub18WarpStoreAlgorithmE2EiEvPT3_
                                        ; -- End function
	.set _Z17warp_store_kernelILj256ELj64ELj32ELN6hipcub18WarpStoreAlgorithmE2EiEvPT3_.num_vgpr, 26
	.set _Z17warp_store_kernelILj256ELj64ELj32ELN6hipcub18WarpStoreAlgorithmE2EiEvPT3_.num_agpr, 0
	.set _Z17warp_store_kernelILj256ELj64ELj32ELN6hipcub18WarpStoreAlgorithmE2EiEvPT3_.numbered_sgpr, 5
	.set _Z17warp_store_kernelILj256ELj64ELj32ELN6hipcub18WarpStoreAlgorithmE2EiEvPT3_.num_named_barrier, 0
	.set _Z17warp_store_kernelILj256ELj64ELj32ELN6hipcub18WarpStoreAlgorithmE2EiEvPT3_.private_seg_size, 0
	.set _Z17warp_store_kernelILj256ELj64ELj32ELN6hipcub18WarpStoreAlgorithmE2EiEvPT3_.uses_vcc, 0
	.set _Z17warp_store_kernelILj256ELj64ELj32ELN6hipcub18WarpStoreAlgorithmE2EiEvPT3_.uses_flat_scratch, 0
	.set _Z17warp_store_kernelILj256ELj64ELj32ELN6hipcub18WarpStoreAlgorithmE2EiEvPT3_.has_dyn_sized_stack, 0
	.set _Z17warp_store_kernelILj256ELj64ELj32ELN6hipcub18WarpStoreAlgorithmE2EiEvPT3_.has_recursion, 0
	.set _Z17warp_store_kernelILj256ELj64ELj32ELN6hipcub18WarpStoreAlgorithmE2EiEvPT3_.has_indirect_call, 0
	.section	.AMDGPU.csdata,"",@progbits
; Kernel info:
; codeLenInByte = 616
; TotalNumSgprs: 5
; NumVgprs: 26
; ScratchSize: 0
; MemoryBound: 1
; FloatMode: 240
; IeeeMode: 1
; LDSByteSize: 0 bytes/workgroup (compile time only)
; SGPRBlocks: 0
; VGPRBlocks: 1
; NumSGPRsForWavesPerEU: 5
; NumVGPRsForWavesPerEU: 26
; NamedBarCnt: 0
; Occupancy: 16
; WaveLimiterHint : 1
; COMPUTE_PGM_RSRC2:SCRATCH_EN: 0
; COMPUTE_PGM_RSRC2:USER_SGPR: 2
; COMPUTE_PGM_RSRC2:TRAP_HANDLER: 0
; COMPUTE_PGM_RSRC2:TGID_X_EN: 1
; COMPUTE_PGM_RSRC2:TGID_Y_EN: 0
; COMPUTE_PGM_RSRC2:TGID_Z_EN: 0
; COMPUTE_PGM_RSRC2:TIDIG_COMP_CNT: 0
	.section	.text._Z17warp_store_kernelILj256ELj4ELj32ELN6hipcub18WarpStoreAlgorithmE0EdEvPT3_,"axG",@progbits,_Z17warp_store_kernelILj256ELj4ELj32ELN6hipcub18WarpStoreAlgorithmE0EdEvPT3_,comdat
	.protected	_Z17warp_store_kernelILj256ELj4ELj32ELN6hipcub18WarpStoreAlgorithmE0EdEvPT3_ ; -- Begin function _Z17warp_store_kernelILj256ELj4ELj32ELN6hipcub18WarpStoreAlgorithmE0EdEvPT3_
	.globl	_Z17warp_store_kernelILj256ELj4ELj32ELN6hipcub18WarpStoreAlgorithmE0EdEvPT3_
	.p2align	8
	.type	_Z17warp_store_kernelILj256ELj4ELj32ELN6hipcub18WarpStoreAlgorithmE0EdEvPT3_,@function
_Z17warp_store_kernelILj256ELj4ELj32ELN6hipcub18WarpStoreAlgorithmE0EdEvPT3_: ; @_Z17warp_store_kernelILj256ELj4ELj32ELN6hipcub18WarpStoreAlgorithmE0EdEvPT3_
; %bb.0:
	s_load_b64 s[0:1], s[0:1], 0x0
	s_bfe_u32 s2, ttmp6, 0x4000c
	s_and_b32 s3, ttmp6, 15
	s_add_co_i32 s2, s2, 1
	s_getreg_b32 s4, hwreg(HW_REG_IB_STS2, 6, 4)
	s_mul_i32 s2, ttmp9, s2
	v_dual_mov_b32 v1, 0 :: v_dual_lshlrev_b32 v0, 2, v0
	s_add_co_i32 s3, s3, s2
	s_cmp_eq_u32 s4, 0
	v_mbcnt_lo_u32_b32 v2, -1, 0
	s_cselect_b32 s2, ttmp9, s3
	v_mov_b32_e32 v5, 2.0
	s_lshl_b32 s2, s2, 10
	v_dual_mov_b32 v7, 0x40080000 :: v_dual_mov_b32 v4, v1
	v_and_or_b32 v0, 0x380, v0, s2
	v_dual_mov_b32 v3, 0x3ff00000 :: v_dual_mov_b32 v6, v1
	s_wait_kmcnt 0x0
	s_delay_alu instid0(VALU_DEP_2) | instskip(SKIP_1) | instid1(VALU_DEP_1)
	v_lshl_add_u64 v[8:9], v[0:1], 3, s[0:1]
	v_dual_lshlrev_b32 v0, 5, v2 :: v_dual_mov_b32 v2, v1
	v_add_nc_u64_e32 v[8:9], v[8:9], v[0:1]
	v_mov_b32_e32 v0, v1
	s_clause 0x1
	global_store_b128 v[8:9], v[0:3], off
	global_store_b128 v[8:9], v[4:7], off offset:16
	s_endpgm
	.section	.rodata,"a",@progbits
	.p2align	6, 0x0
	.amdhsa_kernel _Z17warp_store_kernelILj256ELj4ELj32ELN6hipcub18WarpStoreAlgorithmE0EdEvPT3_
		.amdhsa_group_segment_fixed_size 0
		.amdhsa_private_segment_fixed_size 0
		.amdhsa_kernarg_size 8
		.amdhsa_user_sgpr_count 2
		.amdhsa_user_sgpr_dispatch_ptr 0
		.amdhsa_user_sgpr_queue_ptr 0
		.amdhsa_user_sgpr_kernarg_segment_ptr 1
		.amdhsa_user_sgpr_dispatch_id 0
		.amdhsa_user_sgpr_kernarg_preload_length 0
		.amdhsa_user_sgpr_kernarg_preload_offset 0
		.amdhsa_user_sgpr_private_segment_size 0
		.amdhsa_wavefront_size32 1
		.amdhsa_uses_dynamic_stack 0
		.amdhsa_enable_private_segment 0
		.amdhsa_system_sgpr_workgroup_id_x 1
		.amdhsa_system_sgpr_workgroup_id_y 0
		.amdhsa_system_sgpr_workgroup_id_z 0
		.amdhsa_system_sgpr_workgroup_info 0
		.amdhsa_system_vgpr_workitem_id 0
		.amdhsa_next_free_vgpr 10
		.amdhsa_next_free_sgpr 5
		.amdhsa_named_barrier_count 0
		.amdhsa_reserve_vcc 0
		.amdhsa_float_round_mode_32 0
		.amdhsa_float_round_mode_16_64 0
		.amdhsa_float_denorm_mode_32 3
		.amdhsa_float_denorm_mode_16_64 3
		.amdhsa_fp16_overflow 0
		.amdhsa_memory_ordered 1
		.amdhsa_forward_progress 1
		.amdhsa_inst_pref_size 2
		.amdhsa_round_robin_scheduling 0
		.amdhsa_exception_fp_ieee_invalid_op 0
		.amdhsa_exception_fp_denorm_src 0
		.amdhsa_exception_fp_ieee_div_zero 0
		.amdhsa_exception_fp_ieee_overflow 0
		.amdhsa_exception_fp_ieee_underflow 0
		.amdhsa_exception_fp_ieee_inexact 0
		.amdhsa_exception_int_div_zero 0
	.end_amdhsa_kernel
	.section	.text._Z17warp_store_kernelILj256ELj4ELj32ELN6hipcub18WarpStoreAlgorithmE0EdEvPT3_,"axG",@progbits,_Z17warp_store_kernelILj256ELj4ELj32ELN6hipcub18WarpStoreAlgorithmE0EdEvPT3_,comdat
.Lfunc_end19:
	.size	_Z17warp_store_kernelILj256ELj4ELj32ELN6hipcub18WarpStoreAlgorithmE0EdEvPT3_, .Lfunc_end19-_Z17warp_store_kernelILj256ELj4ELj32ELN6hipcub18WarpStoreAlgorithmE0EdEvPT3_
                                        ; -- End function
	.set _Z17warp_store_kernelILj256ELj4ELj32ELN6hipcub18WarpStoreAlgorithmE0EdEvPT3_.num_vgpr, 10
	.set _Z17warp_store_kernelILj256ELj4ELj32ELN6hipcub18WarpStoreAlgorithmE0EdEvPT3_.num_agpr, 0
	.set _Z17warp_store_kernelILj256ELj4ELj32ELN6hipcub18WarpStoreAlgorithmE0EdEvPT3_.numbered_sgpr, 5
	.set _Z17warp_store_kernelILj256ELj4ELj32ELN6hipcub18WarpStoreAlgorithmE0EdEvPT3_.num_named_barrier, 0
	.set _Z17warp_store_kernelILj256ELj4ELj32ELN6hipcub18WarpStoreAlgorithmE0EdEvPT3_.private_seg_size, 0
	.set _Z17warp_store_kernelILj256ELj4ELj32ELN6hipcub18WarpStoreAlgorithmE0EdEvPT3_.uses_vcc, 0
	.set _Z17warp_store_kernelILj256ELj4ELj32ELN6hipcub18WarpStoreAlgorithmE0EdEvPT3_.uses_flat_scratch, 0
	.set _Z17warp_store_kernelILj256ELj4ELj32ELN6hipcub18WarpStoreAlgorithmE0EdEvPT3_.has_dyn_sized_stack, 0
	.set _Z17warp_store_kernelILj256ELj4ELj32ELN6hipcub18WarpStoreAlgorithmE0EdEvPT3_.has_recursion, 0
	.set _Z17warp_store_kernelILj256ELj4ELj32ELN6hipcub18WarpStoreAlgorithmE0EdEvPT3_.has_indirect_call, 0
	.section	.AMDGPU.csdata,"",@progbits
; Kernel info:
; codeLenInByte = 172
; TotalNumSgprs: 5
; NumVgprs: 10
; ScratchSize: 0
; MemoryBound: 0
; FloatMode: 240
; IeeeMode: 1
; LDSByteSize: 0 bytes/workgroup (compile time only)
; SGPRBlocks: 0
; VGPRBlocks: 0
; NumSGPRsForWavesPerEU: 5
; NumVGPRsForWavesPerEU: 10
; NamedBarCnt: 0
; Occupancy: 16
; WaveLimiterHint : 0
; COMPUTE_PGM_RSRC2:SCRATCH_EN: 0
; COMPUTE_PGM_RSRC2:USER_SGPR: 2
; COMPUTE_PGM_RSRC2:TRAP_HANDLER: 0
; COMPUTE_PGM_RSRC2:TGID_X_EN: 1
; COMPUTE_PGM_RSRC2:TGID_Y_EN: 0
; COMPUTE_PGM_RSRC2:TGID_Z_EN: 0
; COMPUTE_PGM_RSRC2:TIDIG_COMP_CNT: 0
	.section	.text._Z17warp_store_kernelILj256ELj4ELj32ELN6hipcub18WarpStoreAlgorithmE1EdEvPT3_,"axG",@progbits,_Z17warp_store_kernelILj256ELj4ELj32ELN6hipcub18WarpStoreAlgorithmE1EdEvPT3_,comdat
	.protected	_Z17warp_store_kernelILj256ELj4ELj32ELN6hipcub18WarpStoreAlgorithmE1EdEvPT3_ ; -- Begin function _Z17warp_store_kernelILj256ELj4ELj32ELN6hipcub18WarpStoreAlgorithmE1EdEvPT3_
	.globl	_Z17warp_store_kernelILj256ELj4ELj32ELN6hipcub18WarpStoreAlgorithmE1EdEvPT3_
	.p2align	8
	.type	_Z17warp_store_kernelILj256ELj4ELj32ELN6hipcub18WarpStoreAlgorithmE1EdEvPT3_,@function
_Z17warp_store_kernelILj256ELj4ELj32ELN6hipcub18WarpStoreAlgorithmE1EdEvPT3_: ; @_Z17warp_store_kernelILj256ELj4ELj32ELN6hipcub18WarpStoreAlgorithmE1EdEvPT3_
; %bb.0:
	s_load_b64 s[0:1], s[0:1], 0x0
	s_bfe_u32 s2, ttmp6, 0x4000c
	s_and_b32 s3, ttmp6, 15
	s_add_co_i32 s2, s2, 1
	s_getreg_b32 s4, hwreg(HW_REG_IB_STS2, 6, 4)
	s_mul_i32 s2, ttmp9, s2
	v_dual_mov_b32 v1, 0 :: v_dual_lshlrev_b32 v0, 2, v0
	s_add_co_i32 s3, s3, s2
	s_cmp_eq_u32 s4, 0
	v_mbcnt_lo_u32_b32 v4, -1, 0
	s_cselect_b32 s2, ttmp9, s3
	v_mov_b64_e32 v[6:7], 2.0
	s_lshl_b32 s2, s2, 10
	v_mov_b64_e32 v[8:9], 0x4008000000000000
	v_and_or_b32 v0, 0x380, v0, s2
	s_wait_kmcnt 0x0
	s_delay_alu instid0(VALU_DEP_1) | instskip(SKIP_2) | instid1(VALU_DEP_2)
	v_lshl_add_u64 v[2:3], v[0:1], 3, s[0:1]
	v_lshlrev_b32_e32 v0, 3, v4
	v_mov_b64_e32 v[4:5], 0
	v_add_nc_u64_e32 v[0:1], v[2:3], v[0:1]
	v_mov_b64_e32 v[2:3], 1.0
	s_clause 0x3
	global_store_b64 v[0:1], v[4:5], off
	global_store_b64 v[0:1], v[2:3], off offset:256
	global_store_b64 v[0:1], v[6:7], off offset:512
	;; [unrolled: 1-line block ×3, first 2 shown]
	s_endpgm
	.section	.rodata,"a",@progbits
	.p2align	6, 0x0
	.amdhsa_kernel _Z17warp_store_kernelILj256ELj4ELj32ELN6hipcub18WarpStoreAlgorithmE1EdEvPT3_
		.amdhsa_group_segment_fixed_size 0
		.amdhsa_private_segment_fixed_size 0
		.amdhsa_kernarg_size 8
		.amdhsa_user_sgpr_count 2
		.amdhsa_user_sgpr_dispatch_ptr 0
		.amdhsa_user_sgpr_queue_ptr 0
		.amdhsa_user_sgpr_kernarg_segment_ptr 1
		.amdhsa_user_sgpr_dispatch_id 0
		.amdhsa_user_sgpr_kernarg_preload_length 0
		.amdhsa_user_sgpr_kernarg_preload_offset 0
		.amdhsa_user_sgpr_private_segment_size 0
		.amdhsa_wavefront_size32 1
		.amdhsa_uses_dynamic_stack 0
		.amdhsa_enable_private_segment 0
		.amdhsa_system_sgpr_workgroup_id_x 1
		.amdhsa_system_sgpr_workgroup_id_y 0
		.amdhsa_system_sgpr_workgroup_id_z 0
		.amdhsa_system_sgpr_workgroup_info 0
		.amdhsa_system_vgpr_workitem_id 0
		.amdhsa_next_free_vgpr 10
		.amdhsa_next_free_sgpr 5
		.amdhsa_named_barrier_count 0
		.amdhsa_reserve_vcc 0
		.amdhsa_float_round_mode_32 0
		.amdhsa_float_round_mode_16_64 0
		.amdhsa_float_denorm_mode_32 3
		.amdhsa_float_denorm_mode_16_64 3
		.amdhsa_fp16_overflow 0
		.amdhsa_memory_ordered 1
		.amdhsa_forward_progress 1
		.amdhsa_inst_pref_size 2
		.amdhsa_round_robin_scheduling 0
		.amdhsa_exception_fp_ieee_invalid_op 0
		.amdhsa_exception_fp_denorm_src 0
		.amdhsa_exception_fp_ieee_div_zero 0
		.amdhsa_exception_fp_ieee_overflow 0
		.amdhsa_exception_fp_ieee_underflow 0
		.amdhsa_exception_fp_ieee_inexact 0
		.amdhsa_exception_int_div_zero 0
	.end_amdhsa_kernel
	.section	.text._Z17warp_store_kernelILj256ELj4ELj32ELN6hipcub18WarpStoreAlgorithmE1EdEvPT3_,"axG",@progbits,_Z17warp_store_kernelILj256ELj4ELj32ELN6hipcub18WarpStoreAlgorithmE1EdEvPT3_,comdat
.Lfunc_end20:
	.size	_Z17warp_store_kernelILj256ELj4ELj32ELN6hipcub18WarpStoreAlgorithmE1EdEvPT3_, .Lfunc_end20-_Z17warp_store_kernelILj256ELj4ELj32ELN6hipcub18WarpStoreAlgorithmE1EdEvPT3_
                                        ; -- End function
	.set _Z17warp_store_kernelILj256ELj4ELj32ELN6hipcub18WarpStoreAlgorithmE1EdEvPT3_.num_vgpr, 10
	.set _Z17warp_store_kernelILj256ELj4ELj32ELN6hipcub18WarpStoreAlgorithmE1EdEvPT3_.num_agpr, 0
	.set _Z17warp_store_kernelILj256ELj4ELj32ELN6hipcub18WarpStoreAlgorithmE1EdEvPT3_.numbered_sgpr, 5
	.set _Z17warp_store_kernelILj256ELj4ELj32ELN6hipcub18WarpStoreAlgorithmE1EdEvPT3_.num_named_barrier, 0
	.set _Z17warp_store_kernelILj256ELj4ELj32ELN6hipcub18WarpStoreAlgorithmE1EdEvPT3_.private_seg_size, 0
	.set _Z17warp_store_kernelILj256ELj4ELj32ELN6hipcub18WarpStoreAlgorithmE1EdEvPT3_.uses_vcc, 0
	.set _Z17warp_store_kernelILj256ELj4ELj32ELN6hipcub18WarpStoreAlgorithmE1EdEvPT3_.uses_flat_scratch, 0
	.set _Z17warp_store_kernelILj256ELj4ELj32ELN6hipcub18WarpStoreAlgorithmE1EdEvPT3_.has_dyn_sized_stack, 0
	.set _Z17warp_store_kernelILj256ELj4ELj32ELN6hipcub18WarpStoreAlgorithmE1EdEvPT3_.has_recursion, 0
	.set _Z17warp_store_kernelILj256ELj4ELj32ELN6hipcub18WarpStoreAlgorithmE1EdEvPT3_.has_indirect_call, 0
	.section	.AMDGPU.csdata,"",@progbits
; Kernel info:
; codeLenInByte = 180
; TotalNumSgprs: 5
; NumVgprs: 10
; ScratchSize: 0
; MemoryBound: 0
; FloatMode: 240
; IeeeMode: 1
; LDSByteSize: 0 bytes/workgroup (compile time only)
; SGPRBlocks: 0
; VGPRBlocks: 0
; NumSGPRsForWavesPerEU: 5
; NumVGPRsForWavesPerEU: 10
; NamedBarCnt: 0
; Occupancy: 16
; WaveLimiterHint : 1
; COMPUTE_PGM_RSRC2:SCRATCH_EN: 0
; COMPUTE_PGM_RSRC2:USER_SGPR: 2
; COMPUTE_PGM_RSRC2:TRAP_HANDLER: 0
; COMPUTE_PGM_RSRC2:TGID_X_EN: 1
; COMPUTE_PGM_RSRC2:TGID_Y_EN: 0
; COMPUTE_PGM_RSRC2:TGID_Z_EN: 0
; COMPUTE_PGM_RSRC2:TIDIG_COMP_CNT: 0
	.section	.text._Z17warp_store_kernelILj256ELj4ELj32ELN6hipcub18WarpStoreAlgorithmE2EdEvPT3_,"axG",@progbits,_Z17warp_store_kernelILj256ELj4ELj32ELN6hipcub18WarpStoreAlgorithmE2EdEvPT3_,comdat
	.protected	_Z17warp_store_kernelILj256ELj4ELj32ELN6hipcub18WarpStoreAlgorithmE2EdEvPT3_ ; -- Begin function _Z17warp_store_kernelILj256ELj4ELj32ELN6hipcub18WarpStoreAlgorithmE2EdEvPT3_
	.globl	_Z17warp_store_kernelILj256ELj4ELj32ELN6hipcub18WarpStoreAlgorithmE2EdEvPT3_
	.p2align	8
	.type	_Z17warp_store_kernelILj256ELj4ELj32ELN6hipcub18WarpStoreAlgorithmE2EdEvPT3_,@function
_Z17warp_store_kernelILj256ELj4ELj32ELN6hipcub18WarpStoreAlgorithmE2EdEvPT3_: ; @_Z17warp_store_kernelILj256ELj4ELj32ELN6hipcub18WarpStoreAlgorithmE2EdEvPT3_
; %bb.0:
	s_load_b64 s[0:1], s[0:1], 0x0
	s_bfe_u32 s2, ttmp6, 0x4000c
	s_and_b32 s3, ttmp6, 15
	s_add_co_i32 s2, s2, 1
	s_getreg_b32 s4, hwreg(HW_REG_IB_STS2, 6, 4)
	s_mul_i32 s2, ttmp9, s2
	v_dual_mov_b32 v1, 0 :: v_dual_lshlrev_b32 v0, 2, v0
	s_add_co_i32 s3, s3, s2
	s_cmp_eq_u32 s4, 0
	v_mbcnt_lo_u32_b32 v2, -1, 0
	s_cselect_b32 s2, ttmp9, s3
	v_mov_b32_e32 v5, 2.0
	s_lshl_b32 s2, s2, 10
	v_dual_mov_b32 v7, 0x40080000 :: v_dual_mov_b32 v4, v1
	v_and_or_b32 v0, 0x380, v0, s2
	v_dual_mov_b32 v3, 0x3ff00000 :: v_dual_mov_b32 v6, v1
	s_wait_kmcnt 0x0
	s_delay_alu instid0(VALU_DEP_2) | instskip(SKIP_1) | instid1(VALU_DEP_1)
	v_lshl_add_u64 v[8:9], v[0:1], 3, s[0:1]
	v_dual_lshlrev_b32 v0, 5, v2 :: v_dual_mov_b32 v2, v1
	v_add_nc_u64_e32 v[8:9], v[8:9], v[0:1]
	v_mov_b32_e32 v0, v1
	s_clause 0x1
	global_store_b128 v[8:9], v[0:3], off
	global_store_b128 v[8:9], v[4:7], off offset:16
	s_endpgm
	.section	.rodata,"a",@progbits
	.p2align	6, 0x0
	.amdhsa_kernel _Z17warp_store_kernelILj256ELj4ELj32ELN6hipcub18WarpStoreAlgorithmE2EdEvPT3_
		.amdhsa_group_segment_fixed_size 0
		.amdhsa_private_segment_fixed_size 0
		.amdhsa_kernarg_size 8
		.amdhsa_user_sgpr_count 2
		.amdhsa_user_sgpr_dispatch_ptr 0
		.amdhsa_user_sgpr_queue_ptr 0
		.amdhsa_user_sgpr_kernarg_segment_ptr 1
		.amdhsa_user_sgpr_dispatch_id 0
		.amdhsa_user_sgpr_kernarg_preload_length 0
		.amdhsa_user_sgpr_kernarg_preload_offset 0
		.amdhsa_user_sgpr_private_segment_size 0
		.amdhsa_wavefront_size32 1
		.amdhsa_uses_dynamic_stack 0
		.amdhsa_enable_private_segment 0
		.amdhsa_system_sgpr_workgroup_id_x 1
		.amdhsa_system_sgpr_workgroup_id_y 0
		.amdhsa_system_sgpr_workgroup_id_z 0
		.amdhsa_system_sgpr_workgroup_info 0
		.amdhsa_system_vgpr_workitem_id 0
		.amdhsa_next_free_vgpr 10
		.amdhsa_next_free_sgpr 5
		.amdhsa_named_barrier_count 0
		.amdhsa_reserve_vcc 0
		.amdhsa_float_round_mode_32 0
		.amdhsa_float_round_mode_16_64 0
		.amdhsa_float_denorm_mode_32 3
		.amdhsa_float_denorm_mode_16_64 3
		.amdhsa_fp16_overflow 0
		.amdhsa_memory_ordered 1
		.amdhsa_forward_progress 1
		.amdhsa_inst_pref_size 2
		.amdhsa_round_robin_scheduling 0
		.amdhsa_exception_fp_ieee_invalid_op 0
		.amdhsa_exception_fp_denorm_src 0
		.amdhsa_exception_fp_ieee_div_zero 0
		.amdhsa_exception_fp_ieee_overflow 0
		.amdhsa_exception_fp_ieee_underflow 0
		.amdhsa_exception_fp_ieee_inexact 0
		.amdhsa_exception_int_div_zero 0
	.end_amdhsa_kernel
	.section	.text._Z17warp_store_kernelILj256ELj4ELj32ELN6hipcub18WarpStoreAlgorithmE2EdEvPT3_,"axG",@progbits,_Z17warp_store_kernelILj256ELj4ELj32ELN6hipcub18WarpStoreAlgorithmE2EdEvPT3_,comdat
.Lfunc_end21:
	.size	_Z17warp_store_kernelILj256ELj4ELj32ELN6hipcub18WarpStoreAlgorithmE2EdEvPT3_, .Lfunc_end21-_Z17warp_store_kernelILj256ELj4ELj32ELN6hipcub18WarpStoreAlgorithmE2EdEvPT3_
                                        ; -- End function
	.set _Z17warp_store_kernelILj256ELj4ELj32ELN6hipcub18WarpStoreAlgorithmE2EdEvPT3_.num_vgpr, 10
	.set _Z17warp_store_kernelILj256ELj4ELj32ELN6hipcub18WarpStoreAlgorithmE2EdEvPT3_.num_agpr, 0
	.set _Z17warp_store_kernelILj256ELj4ELj32ELN6hipcub18WarpStoreAlgorithmE2EdEvPT3_.numbered_sgpr, 5
	.set _Z17warp_store_kernelILj256ELj4ELj32ELN6hipcub18WarpStoreAlgorithmE2EdEvPT3_.num_named_barrier, 0
	.set _Z17warp_store_kernelILj256ELj4ELj32ELN6hipcub18WarpStoreAlgorithmE2EdEvPT3_.private_seg_size, 0
	.set _Z17warp_store_kernelILj256ELj4ELj32ELN6hipcub18WarpStoreAlgorithmE2EdEvPT3_.uses_vcc, 0
	.set _Z17warp_store_kernelILj256ELj4ELj32ELN6hipcub18WarpStoreAlgorithmE2EdEvPT3_.uses_flat_scratch, 0
	.set _Z17warp_store_kernelILj256ELj4ELj32ELN6hipcub18WarpStoreAlgorithmE2EdEvPT3_.has_dyn_sized_stack, 0
	.set _Z17warp_store_kernelILj256ELj4ELj32ELN6hipcub18WarpStoreAlgorithmE2EdEvPT3_.has_recursion, 0
	.set _Z17warp_store_kernelILj256ELj4ELj32ELN6hipcub18WarpStoreAlgorithmE2EdEvPT3_.has_indirect_call, 0
	.section	.AMDGPU.csdata,"",@progbits
; Kernel info:
; codeLenInByte = 172
; TotalNumSgprs: 5
; NumVgprs: 10
; ScratchSize: 0
; MemoryBound: 0
; FloatMode: 240
; IeeeMode: 1
; LDSByteSize: 0 bytes/workgroup (compile time only)
; SGPRBlocks: 0
; VGPRBlocks: 0
; NumSGPRsForWavesPerEU: 5
; NumVGPRsForWavesPerEU: 10
; NamedBarCnt: 0
; Occupancy: 16
; WaveLimiterHint : 0
; COMPUTE_PGM_RSRC2:SCRATCH_EN: 0
; COMPUTE_PGM_RSRC2:USER_SGPR: 2
; COMPUTE_PGM_RSRC2:TRAP_HANDLER: 0
; COMPUTE_PGM_RSRC2:TGID_X_EN: 1
; COMPUTE_PGM_RSRC2:TGID_Y_EN: 0
; COMPUTE_PGM_RSRC2:TGID_Z_EN: 0
; COMPUTE_PGM_RSRC2:TIDIG_COMP_CNT: 0
	.section	.text._Z17warp_store_kernelILj256ELj4ELj32ELN6hipcub18WarpStoreAlgorithmE3EdEvPT3_,"axG",@progbits,_Z17warp_store_kernelILj256ELj4ELj32ELN6hipcub18WarpStoreAlgorithmE3EdEvPT3_,comdat
	.protected	_Z17warp_store_kernelILj256ELj4ELj32ELN6hipcub18WarpStoreAlgorithmE3EdEvPT3_ ; -- Begin function _Z17warp_store_kernelILj256ELj4ELj32ELN6hipcub18WarpStoreAlgorithmE3EdEvPT3_
	.globl	_Z17warp_store_kernelILj256ELj4ELj32ELN6hipcub18WarpStoreAlgorithmE3EdEvPT3_
	.p2align	8
	.type	_Z17warp_store_kernelILj256ELj4ELj32ELN6hipcub18WarpStoreAlgorithmE3EdEvPT3_,@function
_Z17warp_store_kernelILj256ELj4ELj32ELN6hipcub18WarpStoreAlgorithmE3EdEvPT3_: ; @_Z17warp_store_kernelILj256ELj4ELj32ELN6hipcub18WarpStoreAlgorithmE3EdEvPT3_
; %bb.0:
	s_load_b64 s[0:1], s[0:1], 0x0
	s_bfe_u32 s2, ttmp6, 0x4000c
	v_mbcnt_lo_u32_b32 v12, -1, 0
	s_add_co_i32 s2, s2, 1
	s_and_b32 s3, ttmp6, 15
	s_mul_i32 s2, ttmp9, s2
	s_getreg_b32 s4, hwreg(HW_REG_IB_STS2, 6, 4)
	s_add_co_i32 s3, s3, s2
	s_cmp_eq_u32 s4, 0
	v_dual_mov_b32 v1, 0 :: v_dual_lshrrev_b32 v4, 5, v0
	v_dual_mov_b32 v3, 0x3ff00000 :: v_dual_lshlrev_b32 v6, 5, v12
	s_cselect_b32 s2, ttmp9, s3
	s_delay_alu instid0(VALU_DEP_2) | instskip(SKIP_1) | instid1(VALU_DEP_2)
	v_dual_mov_b32 v5, 2.0 :: v_dual_mov_b32 v2, v1
	s_lshl_b32 s2, s2, 10
	v_lshl_or_b32 v8, v4, 10, v6
	v_lshl_or_b32 v0, v4, 7, s2
	v_dual_mov_b32 v4, v1 :: v_dual_mov_b32 v6, v1
	v_mov_b32_e32 v7, 0x40080000
	s_delay_alu instid0(VALU_DEP_4)
	v_mad_i32_i24 v9, 0xffffffe8, v12, v8
	s_wait_kmcnt 0x0
	v_lshl_add_u64 v[10:11], v[0:1], 3, s[0:1]
	v_mov_b32_e32 v0, v1
	ds_store_b128 v8, v[0:3]
	ds_store_b128 v8, v[4:7] offset:16
	; wave barrier
	ds_load_2addr_b64 v[2:5], v9 offset1:32
	ds_load_2addr_b64 v[6:9], v9 offset0:64 offset1:96
	v_lshlrev_b32_e32 v0, 3, v12
	s_delay_alu instid0(VALU_DEP_1)
	v_add_nc_u64_e32 v[0:1], v[10:11], v[0:1]
	s_wait_dscnt 0x1
	s_clause 0x1
	global_store_b64 v[0:1], v[2:3], off
	global_store_b64 v[0:1], v[4:5], off offset:256
	s_wait_dscnt 0x0
	s_clause 0x1
	global_store_b64 v[0:1], v[6:7], off offset:512
	global_store_b64 v[0:1], v[8:9], off offset:768
	s_endpgm
	.section	.rodata,"a",@progbits
	.p2align	6, 0x0
	.amdhsa_kernel _Z17warp_store_kernelILj256ELj4ELj32ELN6hipcub18WarpStoreAlgorithmE3EdEvPT3_
		.amdhsa_group_segment_fixed_size 8192
		.amdhsa_private_segment_fixed_size 0
		.amdhsa_kernarg_size 8
		.amdhsa_user_sgpr_count 2
		.amdhsa_user_sgpr_dispatch_ptr 0
		.amdhsa_user_sgpr_queue_ptr 0
		.amdhsa_user_sgpr_kernarg_segment_ptr 1
		.amdhsa_user_sgpr_dispatch_id 0
		.amdhsa_user_sgpr_kernarg_preload_length 0
		.amdhsa_user_sgpr_kernarg_preload_offset 0
		.amdhsa_user_sgpr_private_segment_size 0
		.amdhsa_wavefront_size32 1
		.amdhsa_uses_dynamic_stack 0
		.amdhsa_enable_private_segment 0
		.amdhsa_system_sgpr_workgroup_id_x 1
		.amdhsa_system_sgpr_workgroup_id_y 0
		.amdhsa_system_sgpr_workgroup_id_z 0
		.amdhsa_system_sgpr_workgroup_info 0
		.amdhsa_system_vgpr_workitem_id 0
		.amdhsa_next_free_vgpr 13
		.amdhsa_next_free_sgpr 5
		.amdhsa_named_barrier_count 0
		.amdhsa_reserve_vcc 0
		.amdhsa_float_round_mode_32 0
		.amdhsa_float_round_mode_16_64 0
		.amdhsa_float_denorm_mode_32 3
		.amdhsa_float_denorm_mode_16_64 3
		.amdhsa_fp16_overflow 0
		.amdhsa_memory_ordered 1
		.amdhsa_forward_progress 1
		.amdhsa_inst_pref_size 3
		.amdhsa_round_robin_scheduling 0
		.amdhsa_exception_fp_ieee_invalid_op 0
		.amdhsa_exception_fp_denorm_src 0
		.amdhsa_exception_fp_ieee_div_zero 0
		.amdhsa_exception_fp_ieee_overflow 0
		.amdhsa_exception_fp_ieee_underflow 0
		.amdhsa_exception_fp_ieee_inexact 0
		.amdhsa_exception_int_div_zero 0
	.end_amdhsa_kernel
	.section	.text._Z17warp_store_kernelILj256ELj4ELj32ELN6hipcub18WarpStoreAlgorithmE3EdEvPT3_,"axG",@progbits,_Z17warp_store_kernelILj256ELj4ELj32ELN6hipcub18WarpStoreAlgorithmE3EdEvPT3_,comdat
.Lfunc_end22:
	.size	_Z17warp_store_kernelILj256ELj4ELj32ELN6hipcub18WarpStoreAlgorithmE3EdEvPT3_, .Lfunc_end22-_Z17warp_store_kernelILj256ELj4ELj32ELN6hipcub18WarpStoreAlgorithmE3EdEvPT3_
                                        ; -- End function
	.set _Z17warp_store_kernelILj256ELj4ELj32ELN6hipcub18WarpStoreAlgorithmE3EdEvPT3_.num_vgpr, 13
	.set _Z17warp_store_kernelILj256ELj4ELj32ELN6hipcub18WarpStoreAlgorithmE3EdEvPT3_.num_agpr, 0
	.set _Z17warp_store_kernelILj256ELj4ELj32ELN6hipcub18WarpStoreAlgorithmE3EdEvPT3_.numbered_sgpr, 5
	.set _Z17warp_store_kernelILj256ELj4ELj32ELN6hipcub18WarpStoreAlgorithmE3EdEvPT3_.num_named_barrier, 0
	.set _Z17warp_store_kernelILj256ELj4ELj32ELN6hipcub18WarpStoreAlgorithmE3EdEvPT3_.private_seg_size, 0
	.set _Z17warp_store_kernelILj256ELj4ELj32ELN6hipcub18WarpStoreAlgorithmE3EdEvPT3_.uses_vcc, 0
	.set _Z17warp_store_kernelILj256ELj4ELj32ELN6hipcub18WarpStoreAlgorithmE3EdEvPT3_.uses_flat_scratch, 0
	.set _Z17warp_store_kernelILj256ELj4ELj32ELN6hipcub18WarpStoreAlgorithmE3EdEvPT3_.has_dyn_sized_stack, 0
	.set _Z17warp_store_kernelILj256ELj4ELj32ELN6hipcub18WarpStoreAlgorithmE3EdEvPT3_.has_recursion, 0
	.set _Z17warp_store_kernelILj256ELj4ELj32ELN6hipcub18WarpStoreAlgorithmE3EdEvPT3_.has_indirect_call, 0
	.section	.AMDGPU.csdata,"",@progbits
; Kernel info:
; codeLenInByte = 268
; TotalNumSgprs: 5
; NumVgprs: 13
; ScratchSize: 0
; MemoryBound: 1
; FloatMode: 240
; IeeeMode: 1
; LDSByteSize: 8192 bytes/workgroup (compile time only)
; SGPRBlocks: 0
; VGPRBlocks: 0
; NumSGPRsForWavesPerEU: 5
; NumVGPRsForWavesPerEU: 13
; NamedBarCnt: 0
; Occupancy: 16
; WaveLimiterHint : 1
; COMPUTE_PGM_RSRC2:SCRATCH_EN: 0
; COMPUTE_PGM_RSRC2:USER_SGPR: 2
; COMPUTE_PGM_RSRC2:TRAP_HANDLER: 0
; COMPUTE_PGM_RSRC2:TGID_X_EN: 1
; COMPUTE_PGM_RSRC2:TGID_Y_EN: 0
; COMPUTE_PGM_RSRC2:TGID_Z_EN: 0
; COMPUTE_PGM_RSRC2:TIDIG_COMP_CNT: 0
	.section	.text._Z17warp_store_kernelILj256ELj8ELj32ELN6hipcub18WarpStoreAlgorithmE0EdEvPT3_,"axG",@progbits,_Z17warp_store_kernelILj256ELj8ELj32ELN6hipcub18WarpStoreAlgorithmE0EdEvPT3_,comdat
	.protected	_Z17warp_store_kernelILj256ELj8ELj32ELN6hipcub18WarpStoreAlgorithmE0EdEvPT3_ ; -- Begin function _Z17warp_store_kernelILj256ELj8ELj32ELN6hipcub18WarpStoreAlgorithmE0EdEvPT3_
	.globl	_Z17warp_store_kernelILj256ELj8ELj32ELN6hipcub18WarpStoreAlgorithmE0EdEvPT3_
	.p2align	8
	.type	_Z17warp_store_kernelILj256ELj8ELj32ELN6hipcub18WarpStoreAlgorithmE0EdEvPT3_,@function
_Z17warp_store_kernelILj256ELj8ELj32ELN6hipcub18WarpStoreAlgorithmE0EdEvPT3_: ; @_Z17warp_store_kernelILj256ELj8ELj32ELN6hipcub18WarpStoreAlgorithmE0EdEvPT3_
; %bb.0:
	s_load_b64 s[0:1], s[0:1], 0x0
	s_bfe_u32 s2, ttmp6, 0x4000c
	s_and_b32 s3, ttmp6, 15
	s_add_co_i32 s2, s2, 1
	s_getreg_b32 s4, hwreg(HW_REG_IB_STS2, 6, 4)
	s_mul_i32 s2, ttmp9, s2
	v_dual_mov_b32 v1, 0 :: v_dual_lshlrev_b32 v0, 3, v0
	s_add_co_i32 s3, s3, s2
	s_cmp_eq_u32 s4, 0
	v_mbcnt_lo_u32_b32 v2, -1, 0
	s_cselect_b32 s2, ttmp9, s3
	v_mov_b32_e32 v3, 0x3ff00000
	s_lshl_b32 s2, s2, 11
	v_mov_b32_e32 v5, 2.0
	v_and_or_b32 v0, 0x700, v0, s2
	v_mov_b32_e32 v11, 0x40140000
	v_dual_mov_b32 v7, 0x40080000 :: v_dual_mov_b32 v4, v1
	v_dual_mov_b32 v9, 0x40100000 :: v_dual_mov_b32 v6, v1
	s_wait_kmcnt 0x0
	v_lshl_add_u64 v[12:13], v[0:1], 3, s[0:1]
	v_dual_lshlrev_b32 v0, 6, v2 :: v_dual_mov_b32 v2, v1
	v_dual_mov_b32 v8, v1 :: v_dual_mov_b32 v10, v1
	v_dual_mov_b32 v15, 0x401c0000 :: v_dual_mov_b32 v14, v1
	s_delay_alu instid0(VALU_DEP_3)
	v_add_nc_u64_e32 v[16:17], v[12:13], v[0:1]
	v_dual_mov_b32 v0, v1 :: v_dual_mov_b32 v13, 0x40180000
	v_mov_b32_e32 v12, v1
	s_clause 0x3
	global_store_b128 v[16:17], v[0:3], off
	global_store_b128 v[16:17], v[4:7], off offset:16
	global_store_b128 v[16:17], v[8:11], off offset:32
	;; [unrolled: 1-line block ×3, first 2 shown]
	s_endpgm
	.section	.rodata,"a",@progbits
	.p2align	6, 0x0
	.amdhsa_kernel _Z17warp_store_kernelILj256ELj8ELj32ELN6hipcub18WarpStoreAlgorithmE0EdEvPT3_
		.amdhsa_group_segment_fixed_size 0
		.amdhsa_private_segment_fixed_size 0
		.amdhsa_kernarg_size 8
		.amdhsa_user_sgpr_count 2
		.amdhsa_user_sgpr_dispatch_ptr 0
		.amdhsa_user_sgpr_queue_ptr 0
		.amdhsa_user_sgpr_kernarg_segment_ptr 1
		.amdhsa_user_sgpr_dispatch_id 0
		.amdhsa_user_sgpr_kernarg_preload_length 0
		.amdhsa_user_sgpr_kernarg_preload_offset 0
		.amdhsa_user_sgpr_private_segment_size 0
		.amdhsa_wavefront_size32 1
		.amdhsa_uses_dynamic_stack 0
		.amdhsa_enable_private_segment 0
		.amdhsa_system_sgpr_workgroup_id_x 1
		.amdhsa_system_sgpr_workgroup_id_y 0
		.amdhsa_system_sgpr_workgroup_id_z 0
		.amdhsa_system_sgpr_workgroup_info 0
		.amdhsa_system_vgpr_workitem_id 0
		.amdhsa_next_free_vgpr 18
		.amdhsa_next_free_sgpr 5
		.amdhsa_named_barrier_count 0
		.amdhsa_reserve_vcc 0
		.amdhsa_float_round_mode_32 0
		.amdhsa_float_round_mode_16_64 0
		.amdhsa_float_denorm_mode_32 3
		.amdhsa_float_denorm_mode_16_64 3
		.amdhsa_fp16_overflow 0
		.amdhsa_memory_ordered 1
		.amdhsa_forward_progress 1
		.amdhsa_inst_pref_size 2
		.amdhsa_round_robin_scheduling 0
		.amdhsa_exception_fp_ieee_invalid_op 0
		.amdhsa_exception_fp_denorm_src 0
		.amdhsa_exception_fp_ieee_div_zero 0
		.amdhsa_exception_fp_ieee_overflow 0
		.amdhsa_exception_fp_ieee_underflow 0
		.amdhsa_exception_fp_ieee_inexact 0
		.amdhsa_exception_int_div_zero 0
	.end_amdhsa_kernel
	.section	.text._Z17warp_store_kernelILj256ELj8ELj32ELN6hipcub18WarpStoreAlgorithmE0EdEvPT3_,"axG",@progbits,_Z17warp_store_kernelILj256ELj8ELj32ELN6hipcub18WarpStoreAlgorithmE0EdEvPT3_,comdat
.Lfunc_end23:
	.size	_Z17warp_store_kernelILj256ELj8ELj32ELN6hipcub18WarpStoreAlgorithmE0EdEvPT3_, .Lfunc_end23-_Z17warp_store_kernelILj256ELj8ELj32ELN6hipcub18WarpStoreAlgorithmE0EdEvPT3_
                                        ; -- End function
	.set _Z17warp_store_kernelILj256ELj8ELj32ELN6hipcub18WarpStoreAlgorithmE0EdEvPT3_.num_vgpr, 18
	.set _Z17warp_store_kernelILj256ELj8ELj32ELN6hipcub18WarpStoreAlgorithmE0EdEvPT3_.num_agpr, 0
	.set _Z17warp_store_kernelILj256ELj8ELj32ELN6hipcub18WarpStoreAlgorithmE0EdEvPT3_.numbered_sgpr, 5
	.set _Z17warp_store_kernelILj256ELj8ELj32ELN6hipcub18WarpStoreAlgorithmE0EdEvPT3_.num_named_barrier, 0
	.set _Z17warp_store_kernelILj256ELj8ELj32ELN6hipcub18WarpStoreAlgorithmE0EdEvPT3_.private_seg_size, 0
	.set _Z17warp_store_kernelILj256ELj8ELj32ELN6hipcub18WarpStoreAlgorithmE0EdEvPT3_.uses_vcc, 0
	.set _Z17warp_store_kernelILj256ELj8ELj32ELN6hipcub18WarpStoreAlgorithmE0EdEvPT3_.uses_flat_scratch, 0
	.set _Z17warp_store_kernelILj256ELj8ELj32ELN6hipcub18WarpStoreAlgorithmE0EdEvPT3_.has_dyn_sized_stack, 0
	.set _Z17warp_store_kernelILj256ELj8ELj32ELN6hipcub18WarpStoreAlgorithmE0EdEvPT3_.has_recursion, 0
	.set _Z17warp_store_kernelILj256ELj8ELj32ELN6hipcub18WarpStoreAlgorithmE0EdEvPT3_.has_indirect_call, 0
	.section	.AMDGPU.csdata,"",@progbits
; Kernel info:
; codeLenInByte = 248
; TotalNumSgprs: 5
; NumVgprs: 18
; ScratchSize: 0
; MemoryBound: 1
; FloatMode: 240
; IeeeMode: 1
; LDSByteSize: 0 bytes/workgroup (compile time only)
; SGPRBlocks: 0
; VGPRBlocks: 1
; NumSGPRsForWavesPerEU: 5
; NumVGPRsForWavesPerEU: 18
; NamedBarCnt: 0
; Occupancy: 16
; WaveLimiterHint : 1
; COMPUTE_PGM_RSRC2:SCRATCH_EN: 0
; COMPUTE_PGM_RSRC2:USER_SGPR: 2
; COMPUTE_PGM_RSRC2:TRAP_HANDLER: 0
; COMPUTE_PGM_RSRC2:TGID_X_EN: 1
; COMPUTE_PGM_RSRC2:TGID_Y_EN: 0
; COMPUTE_PGM_RSRC2:TGID_Z_EN: 0
; COMPUTE_PGM_RSRC2:TIDIG_COMP_CNT: 0
	.section	.text._Z17warp_store_kernelILj256ELj8ELj32ELN6hipcub18WarpStoreAlgorithmE1EdEvPT3_,"axG",@progbits,_Z17warp_store_kernelILj256ELj8ELj32ELN6hipcub18WarpStoreAlgorithmE1EdEvPT3_,comdat
	.protected	_Z17warp_store_kernelILj256ELj8ELj32ELN6hipcub18WarpStoreAlgorithmE1EdEvPT3_ ; -- Begin function _Z17warp_store_kernelILj256ELj8ELj32ELN6hipcub18WarpStoreAlgorithmE1EdEvPT3_
	.globl	_Z17warp_store_kernelILj256ELj8ELj32ELN6hipcub18WarpStoreAlgorithmE1EdEvPT3_
	.p2align	8
	.type	_Z17warp_store_kernelILj256ELj8ELj32ELN6hipcub18WarpStoreAlgorithmE1EdEvPT3_,@function
_Z17warp_store_kernelILj256ELj8ELj32ELN6hipcub18WarpStoreAlgorithmE1EdEvPT3_: ; @_Z17warp_store_kernelILj256ELj8ELj32ELN6hipcub18WarpStoreAlgorithmE1EdEvPT3_
; %bb.0:
	s_load_b64 s[0:1], s[0:1], 0x0
	s_bfe_u32 s2, ttmp6, 0x4000c
	s_and_b32 s3, ttmp6, 15
	s_add_co_i32 s2, s2, 1
	s_getreg_b32 s4, hwreg(HW_REG_IB_STS2, 6, 4)
	s_mul_i32 s2, ttmp9, s2
	v_dual_mov_b32 v1, 0 :: v_dual_lshlrev_b32 v0, 3, v0
	s_add_co_i32 s3, s3, s2
	s_cmp_eq_u32 s4, 0
	v_mbcnt_lo_u32_b32 v4, -1, 0
	s_cselect_b32 s2, ttmp9, s3
	v_mov_b64_e32 v[6:7], 1.0
	s_lshl_b32 s2, s2, 11
	v_mov_b64_e32 v[8:9], 0x4008000000000000
	v_and_or_b32 v0, 0x700, v0, s2
	v_mov_b64_e32 v[10:11], 4.0
	v_mov_b64_e32 v[12:13], 0x4014000000000000
	v_mov_b64_e32 v[14:15], 0x4018000000000000
	;; [unrolled: 1-line block ×3, first 2 shown]
	s_wait_kmcnt 0x0
	v_lshl_add_u64 v[2:3], v[0:1], 3, s[0:1]
	v_lshlrev_b32_e32 v0, 3, v4
	v_mov_b64_e32 v[4:5], 0
	s_delay_alu instid0(VALU_DEP_2)
	v_add_nc_u64_e32 v[0:1], v[2:3], v[0:1]
	v_mov_b64_e32 v[2:3], 2.0
	s_clause 0x7
	global_store_b64 v[0:1], v[4:5], off
	global_store_b64 v[0:1], v[6:7], off offset:256
	global_store_b64 v[0:1], v[2:3], off offset:512
	global_store_b64 v[0:1], v[8:9], off offset:768
	global_store_b64 v[0:1], v[10:11], off offset:1024
	global_store_b64 v[0:1], v[12:13], off offset:1280
	global_store_b64 v[0:1], v[14:15], off offset:1536
	global_store_b64 v[0:1], v[16:17], off offset:1792
	s_endpgm
	.section	.rodata,"a",@progbits
	.p2align	6, 0x0
	.amdhsa_kernel _Z17warp_store_kernelILj256ELj8ELj32ELN6hipcub18WarpStoreAlgorithmE1EdEvPT3_
		.amdhsa_group_segment_fixed_size 0
		.amdhsa_private_segment_fixed_size 0
		.amdhsa_kernarg_size 8
		.amdhsa_user_sgpr_count 2
		.amdhsa_user_sgpr_dispatch_ptr 0
		.amdhsa_user_sgpr_queue_ptr 0
		.amdhsa_user_sgpr_kernarg_segment_ptr 1
		.amdhsa_user_sgpr_dispatch_id 0
		.amdhsa_user_sgpr_kernarg_preload_length 0
		.amdhsa_user_sgpr_kernarg_preload_offset 0
		.amdhsa_user_sgpr_private_segment_size 0
		.amdhsa_wavefront_size32 1
		.amdhsa_uses_dynamic_stack 0
		.amdhsa_enable_private_segment 0
		.amdhsa_system_sgpr_workgroup_id_x 1
		.amdhsa_system_sgpr_workgroup_id_y 0
		.amdhsa_system_sgpr_workgroup_id_z 0
		.amdhsa_system_sgpr_workgroup_info 0
		.amdhsa_system_vgpr_workitem_id 0
		.amdhsa_next_free_vgpr 18
		.amdhsa_next_free_sgpr 5
		.amdhsa_named_barrier_count 0
		.amdhsa_reserve_vcc 0
		.amdhsa_float_round_mode_32 0
		.amdhsa_float_round_mode_16_64 0
		.amdhsa_float_denorm_mode_32 3
		.amdhsa_float_denorm_mode_16_64 3
		.amdhsa_fp16_overflow 0
		.amdhsa_memory_ordered 1
		.amdhsa_forward_progress 1
		.amdhsa_inst_pref_size 3
		.amdhsa_round_robin_scheduling 0
		.amdhsa_exception_fp_ieee_invalid_op 0
		.amdhsa_exception_fp_denorm_src 0
		.amdhsa_exception_fp_ieee_div_zero 0
		.amdhsa_exception_fp_ieee_overflow 0
		.amdhsa_exception_fp_ieee_underflow 0
		.amdhsa_exception_fp_ieee_inexact 0
		.amdhsa_exception_int_div_zero 0
	.end_amdhsa_kernel
	.section	.text._Z17warp_store_kernelILj256ELj8ELj32ELN6hipcub18WarpStoreAlgorithmE1EdEvPT3_,"axG",@progbits,_Z17warp_store_kernelILj256ELj8ELj32ELN6hipcub18WarpStoreAlgorithmE1EdEvPT3_,comdat
.Lfunc_end24:
	.size	_Z17warp_store_kernelILj256ELj8ELj32ELN6hipcub18WarpStoreAlgorithmE1EdEvPT3_, .Lfunc_end24-_Z17warp_store_kernelILj256ELj8ELj32ELN6hipcub18WarpStoreAlgorithmE1EdEvPT3_
                                        ; -- End function
	.set _Z17warp_store_kernelILj256ELj8ELj32ELN6hipcub18WarpStoreAlgorithmE1EdEvPT3_.num_vgpr, 18
	.set _Z17warp_store_kernelILj256ELj8ELj32ELN6hipcub18WarpStoreAlgorithmE1EdEvPT3_.num_agpr, 0
	.set _Z17warp_store_kernelILj256ELj8ELj32ELN6hipcub18WarpStoreAlgorithmE1EdEvPT3_.numbered_sgpr, 5
	.set _Z17warp_store_kernelILj256ELj8ELj32ELN6hipcub18WarpStoreAlgorithmE1EdEvPT3_.num_named_barrier, 0
	.set _Z17warp_store_kernelILj256ELj8ELj32ELN6hipcub18WarpStoreAlgorithmE1EdEvPT3_.private_seg_size, 0
	.set _Z17warp_store_kernelILj256ELj8ELj32ELN6hipcub18WarpStoreAlgorithmE1EdEvPT3_.uses_vcc, 0
	.set _Z17warp_store_kernelILj256ELj8ELj32ELN6hipcub18WarpStoreAlgorithmE1EdEvPT3_.uses_flat_scratch, 0
	.set _Z17warp_store_kernelILj256ELj8ELj32ELN6hipcub18WarpStoreAlgorithmE1EdEvPT3_.has_dyn_sized_stack, 0
	.set _Z17warp_store_kernelILj256ELj8ELj32ELN6hipcub18WarpStoreAlgorithmE1EdEvPT3_.has_recursion, 0
	.set _Z17warp_store_kernelILj256ELj8ELj32ELN6hipcub18WarpStoreAlgorithmE1EdEvPT3_.has_indirect_call, 0
	.section	.AMDGPU.csdata,"",@progbits
; Kernel info:
; codeLenInByte = 268
; TotalNumSgprs: 5
; NumVgprs: 18
; ScratchSize: 0
; MemoryBound: 1
; FloatMode: 240
; IeeeMode: 1
; LDSByteSize: 0 bytes/workgroup (compile time only)
; SGPRBlocks: 0
; VGPRBlocks: 1
; NumSGPRsForWavesPerEU: 5
; NumVGPRsForWavesPerEU: 18
; NamedBarCnt: 0
; Occupancy: 16
; WaveLimiterHint : 1
; COMPUTE_PGM_RSRC2:SCRATCH_EN: 0
; COMPUTE_PGM_RSRC2:USER_SGPR: 2
; COMPUTE_PGM_RSRC2:TRAP_HANDLER: 0
; COMPUTE_PGM_RSRC2:TGID_X_EN: 1
; COMPUTE_PGM_RSRC2:TGID_Y_EN: 0
; COMPUTE_PGM_RSRC2:TGID_Z_EN: 0
; COMPUTE_PGM_RSRC2:TIDIG_COMP_CNT: 0
	.section	.text._Z17warp_store_kernelILj256ELj8ELj32ELN6hipcub18WarpStoreAlgorithmE2EdEvPT3_,"axG",@progbits,_Z17warp_store_kernelILj256ELj8ELj32ELN6hipcub18WarpStoreAlgorithmE2EdEvPT3_,comdat
	.protected	_Z17warp_store_kernelILj256ELj8ELj32ELN6hipcub18WarpStoreAlgorithmE2EdEvPT3_ ; -- Begin function _Z17warp_store_kernelILj256ELj8ELj32ELN6hipcub18WarpStoreAlgorithmE2EdEvPT3_
	.globl	_Z17warp_store_kernelILj256ELj8ELj32ELN6hipcub18WarpStoreAlgorithmE2EdEvPT3_
	.p2align	8
	.type	_Z17warp_store_kernelILj256ELj8ELj32ELN6hipcub18WarpStoreAlgorithmE2EdEvPT3_,@function
_Z17warp_store_kernelILj256ELj8ELj32ELN6hipcub18WarpStoreAlgorithmE2EdEvPT3_: ; @_Z17warp_store_kernelILj256ELj8ELj32ELN6hipcub18WarpStoreAlgorithmE2EdEvPT3_
; %bb.0:
	s_load_b64 s[0:1], s[0:1], 0x0
	s_bfe_u32 s2, ttmp6, 0x4000c
	s_and_b32 s3, ttmp6, 15
	s_add_co_i32 s2, s2, 1
	s_getreg_b32 s4, hwreg(HW_REG_IB_STS2, 6, 4)
	s_mul_i32 s2, ttmp9, s2
	v_dual_mov_b32 v1, 0 :: v_dual_lshlrev_b32 v0, 3, v0
	s_add_co_i32 s3, s3, s2
	s_cmp_eq_u32 s4, 0
	v_mbcnt_lo_u32_b32 v2, -1, 0
	s_cselect_b32 s2, ttmp9, s3
	v_mov_b32_e32 v3, 0x3ff00000
	s_lshl_b32 s2, s2, 11
	v_mov_b32_e32 v5, 2.0
	v_and_or_b32 v0, 0x700, v0, s2
	v_mov_b32_e32 v11, 0x40140000
	v_dual_mov_b32 v7, 0x40080000 :: v_dual_mov_b32 v4, v1
	v_dual_mov_b32 v9, 0x40100000 :: v_dual_mov_b32 v6, v1
	s_wait_kmcnt 0x0
	v_lshl_add_u64 v[12:13], v[0:1], 3, s[0:1]
	v_dual_lshlrev_b32 v0, 6, v2 :: v_dual_mov_b32 v2, v1
	v_dual_mov_b32 v8, v1 :: v_dual_mov_b32 v10, v1
	v_dual_mov_b32 v15, 0x401c0000 :: v_dual_mov_b32 v14, v1
	s_delay_alu instid0(VALU_DEP_3)
	v_add_nc_u64_e32 v[16:17], v[12:13], v[0:1]
	v_dual_mov_b32 v0, v1 :: v_dual_mov_b32 v13, 0x40180000
	v_mov_b32_e32 v12, v1
	s_clause 0x3
	global_store_b128 v[16:17], v[0:3], off
	global_store_b128 v[16:17], v[4:7], off offset:16
	global_store_b128 v[16:17], v[8:11], off offset:32
	;; [unrolled: 1-line block ×3, first 2 shown]
	s_endpgm
	.section	.rodata,"a",@progbits
	.p2align	6, 0x0
	.amdhsa_kernel _Z17warp_store_kernelILj256ELj8ELj32ELN6hipcub18WarpStoreAlgorithmE2EdEvPT3_
		.amdhsa_group_segment_fixed_size 0
		.amdhsa_private_segment_fixed_size 0
		.amdhsa_kernarg_size 8
		.amdhsa_user_sgpr_count 2
		.amdhsa_user_sgpr_dispatch_ptr 0
		.amdhsa_user_sgpr_queue_ptr 0
		.amdhsa_user_sgpr_kernarg_segment_ptr 1
		.amdhsa_user_sgpr_dispatch_id 0
		.amdhsa_user_sgpr_kernarg_preload_length 0
		.amdhsa_user_sgpr_kernarg_preload_offset 0
		.amdhsa_user_sgpr_private_segment_size 0
		.amdhsa_wavefront_size32 1
		.amdhsa_uses_dynamic_stack 0
		.amdhsa_enable_private_segment 0
		.amdhsa_system_sgpr_workgroup_id_x 1
		.amdhsa_system_sgpr_workgroup_id_y 0
		.amdhsa_system_sgpr_workgroup_id_z 0
		.amdhsa_system_sgpr_workgroup_info 0
		.amdhsa_system_vgpr_workitem_id 0
		.amdhsa_next_free_vgpr 18
		.amdhsa_next_free_sgpr 5
		.amdhsa_named_barrier_count 0
		.amdhsa_reserve_vcc 0
		.amdhsa_float_round_mode_32 0
		.amdhsa_float_round_mode_16_64 0
		.amdhsa_float_denorm_mode_32 3
		.amdhsa_float_denorm_mode_16_64 3
		.amdhsa_fp16_overflow 0
		.amdhsa_memory_ordered 1
		.amdhsa_forward_progress 1
		.amdhsa_inst_pref_size 2
		.amdhsa_round_robin_scheduling 0
		.amdhsa_exception_fp_ieee_invalid_op 0
		.amdhsa_exception_fp_denorm_src 0
		.amdhsa_exception_fp_ieee_div_zero 0
		.amdhsa_exception_fp_ieee_overflow 0
		.amdhsa_exception_fp_ieee_underflow 0
		.amdhsa_exception_fp_ieee_inexact 0
		.amdhsa_exception_int_div_zero 0
	.end_amdhsa_kernel
	.section	.text._Z17warp_store_kernelILj256ELj8ELj32ELN6hipcub18WarpStoreAlgorithmE2EdEvPT3_,"axG",@progbits,_Z17warp_store_kernelILj256ELj8ELj32ELN6hipcub18WarpStoreAlgorithmE2EdEvPT3_,comdat
.Lfunc_end25:
	.size	_Z17warp_store_kernelILj256ELj8ELj32ELN6hipcub18WarpStoreAlgorithmE2EdEvPT3_, .Lfunc_end25-_Z17warp_store_kernelILj256ELj8ELj32ELN6hipcub18WarpStoreAlgorithmE2EdEvPT3_
                                        ; -- End function
	.set _Z17warp_store_kernelILj256ELj8ELj32ELN6hipcub18WarpStoreAlgorithmE2EdEvPT3_.num_vgpr, 18
	.set _Z17warp_store_kernelILj256ELj8ELj32ELN6hipcub18WarpStoreAlgorithmE2EdEvPT3_.num_agpr, 0
	.set _Z17warp_store_kernelILj256ELj8ELj32ELN6hipcub18WarpStoreAlgorithmE2EdEvPT3_.numbered_sgpr, 5
	.set _Z17warp_store_kernelILj256ELj8ELj32ELN6hipcub18WarpStoreAlgorithmE2EdEvPT3_.num_named_barrier, 0
	.set _Z17warp_store_kernelILj256ELj8ELj32ELN6hipcub18WarpStoreAlgorithmE2EdEvPT3_.private_seg_size, 0
	.set _Z17warp_store_kernelILj256ELj8ELj32ELN6hipcub18WarpStoreAlgorithmE2EdEvPT3_.uses_vcc, 0
	.set _Z17warp_store_kernelILj256ELj8ELj32ELN6hipcub18WarpStoreAlgorithmE2EdEvPT3_.uses_flat_scratch, 0
	.set _Z17warp_store_kernelILj256ELj8ELj32ELN6hipcub18WarpStoreAlgorithmE2EdEvPT3_.has_dyn_sized_stack, 0
	.set _Z17warp_store_kernelILj256ELj8ELj32ELN6hipcub18WarpStoreAlgorithmE2EdEvPT3_.has_recursion, 0
	.set _Z17warp_store_kernelILj256ELj8ELj32ELN6hipcub18WarpStoreAlgorithmE2EdEvPT3_.has_indirect_call, 0
	.section	.AMDGPU.csdata,"",@progbits
; Kernel info:
; codeLenInByte = 248
; TotalNumSgprs: 5
; NumVgprs: 18
; ScratchSize: 0
; MemoryBound: 1
; FloatMode: 240
; IeeeMode: 1
; LDSByteSize: 0 bytes/workgroup (compile time only)
; SGPRBlocks: 0
; VGPRBlocks: 1
; NumSGPRsForWavesPerEU: 5
; NumVGPRsForWavesPerEU: 18
; NamedBarCnt: 0
; Occupancy: 16
; WaveLimiterHint : 1
; COMPUTE_PGM_RSRC2:SCRATCH_EN: 0
; COMPUTE_PGM_RSRC2:USER_SGPR: 2
; COMPUTE_PGM_RSRC2:TRAP_HANDLER: 0
; COMPUTE_PGM_RSRC2:TGID_X_EN: 1
; COMPUTE_PGM_RSRC2:TGID_Y_EN: 0
; COMPUTE_PGM_RSRC2:TGID_Z_EN: 0
; COMPUTE_PGM_RSRC2:TIDIG_COMP_CNT: 0
	.section	.text._Z17warp_store_kernelILj256ELj8ELj32ELN6hipcub18WarpStoreAlgorithmE3EdEvPT3_,"axG",@progbits,_Z17warp_store_kernelILj256ELj8ELj32ELN6hipcub18WarpStoreAlgorithmE3EdEvPT3_,comdat
	.protected	_Z17warp_store_kernelILj256ELj8ELj32ELN6hipcub18WarpStoreAlgorithmE3EdEvPT3_ ; -- Begin function _Z17warp_store_kernelILj256ELj8ELj32ELN6hipcub18WarpStoreAlgorithmE3EdEvPT3_
	.globl	_Z17warp_store_kernelILj256ELj8ELj32ELN6hipcub18WarpStoreAlgorithmE3EdEvPT3_
	.p2align	8
	.type	_Z17warp_store_kernelILj256ELj8ELj32ELN6hipcub18WarpStoreAlgorithmE3EdEvPT3_,@function
_Z17warp_store_kernelILj256ELj8ELj32ELN6hipcub18WarpStoreAlgorithmE3EdEvPT3_: ; @_Z17warp_store_kernelILj256ELj8ELj32ELN6hipcub18WarpStoreAlgorithmE3EdEvPT3_
; %bb.0:
	s_load_b64 s[0:1], s[0:1], 0x0
	s_bfe_u32 s2, ttmp6, 0x4000c
	s_and_b32 s3, ttmp6, 15
	s_add_co_i32 s2, s2, 1
	s_getreg_b32 s4, hwreg(HW_REG_IB_STS2, 6, 4)
	s_mul_i32 s2, ttmp9, s2
	v_mbcnt_lo_u32_b32 v20, -1, 0
	s_add_co_i32 s3, s3, s2
	s_cmp_eq_u32 s4, 0
	v_dual_mov_b32 v1, 0 :: v_dual_lshrrev_b32 v4, 5, v0
	s_cselect_b32 s2, ttmp9, s3
	v_dual_mov_b32 v3, 0x3ff00000 :: v_dual_lshlrev_b32 v6, 6, v20
	s_lshl_b32 s2, s2, 11
	s_delay_alu instid0(VALU_DEP_2) | instskip(SKIP_1) | instid1(VALU_DEP_3)
	v_dual_mov_b32 v5, 2.0 :: v_dual_mov_b32 v2, v1
	v_lshl_or_b32 v0, v4, 8, s2
	v_lshl_or_b32 v16, v4, 11, v6
	v_dual_mov_b32 v4, v1 :: v_dual_mov_b32 v6, v1
	v_mov_b32_e32 v7, 0x40080000
	s_wait_kmcnt 0x0
	v_lshl_add_u64 v[18:19], v[0:1], 3, s[0:1]
	v_dual_mov_b32 v0, v1 :: v_dual_mov_b32 v9, 0x40100000
	v_dual_mov_b32 v8, v1 :: v_dual_mov_b32 v11, 0x40140000
	v_mov_b32_e32 v10, v1
	ds_store_b128 v16, v[0:3]
	ds_store_b128 v16, v[4:7] offset:16
	v_mad_i32_i24 v0, 0xffffffc8, v20, v16
	v_dual_mov_b32 v13, 0x40180000 :: v_dual_mov_b32 v12, v1
	v_dual_mov_b32 v15, 0x401c0000 :: v_dual_mov_b32 v14, v1
	ds_store_b128 v16, v[8:11] offset:32
	ds_store_b128 v16, v[12:15] offset:48
	; wave barrier
	ds_load_2addr_b64 v[2:5], v0 offset1:32
	ds_load_2addr_b64 v[6:9], v0 offset0:64 offset1:96
	ds_load_2addr_b64 v[10:13], v0 offset0:128 offset1:160
	;; [unrolled: 1-line block ×3, first 2 shown]
	v_lshlrev_b32_e32 v0, 3, v20
	s_delay_alu instid0(VALU_DEP_1)
	v_add_nc_u64_e32 v[0:1], v[18:19], v[0:1]
	s_wait_dscnt 0x3
	s_clause 0x1
	global_store_b64 v[0:1], v[2:3], off
	global_store_b64 v[0:1], v[4:5], off offset:256
	s_wait_dscnt 0x2
	s_clause 0x1
	global_store_b64 v[0:1], v[6:7], off offset:512
	global_store_b64 v[0:1], v[8:9], off offset:768
	s_wait_dscnt 0x1
	s_clause 0x1
	global_store_b64 v[0:1], v[10:11], off offset:1024
	;; [unrolled: 4-line block ×3, first 2 shown]
	global_store_b64 v[0:1], v[16:17], off offset:1792
	s_endpgm
	.section	.rodata,"a",@progbits
	.p2align	6, 0x0
	.amdhsa_kernel _Z17warp_store_kernelILj256ELj8ELj32ELN6hipcub18WarpStoreAlgorithmE3EdEvPT3_
		.amdhsa_group_segment_fixed_size 16384
		.amdhsa_private_segment_fixed_size 0
		.amdhsa_kernarg_size 8
		.amdhsa_user_sgpr_count 2
		.amdhsa_user_sgpr_dispatch_ptr 0
		.amdhsa_user_sgpr_queue_ptr 0
		.amdhsa_user_sgpr_kernarg_segment_ptr 1
		.amdhsa_user_sgpr_dispatch_id 0
		.amdhsa_user_sgpr_kernarg_preload_length 0
		.amdhsa_user_sgpr_kernarg_preload_offset 0
		.amdhsa_user_sgpr_private_segment_size 0
		.amdhsa_wavefront_size32 1
		.amdhsa_uses_dynamic_stack 0
		.amdhsa_enable_private_segment 0
		.amdhsa_system_sgpr_workgroup_id_x 1
		.amdhsa_system_sgpr_workgroup_id_y 0
		.amdhsa_system_sgpr_workgroup_id_z 0
		.amdhsa_system_sgpr_workgroup_info 0
		.amdhsa_system_vgpr_workitem_id 0
		.amdhsa_next_free_vgpr 21
		.amdhsa_next_free_sgpr 5
		.amdhsa_named_barrier_count 0
		.amdhsa_reserve_vcc 0
		.amdhsa_float_round_mode_32 0
		.amdhsa_float_round_mode_16_64 0
		.amdhsa_float_denorm_mode_32 3
		.amdhsa_float_denorm_mode_16_64 3
		.amdhsa_fp16_overflow 0
		.amdhsa_memory_ordered 1
		.amdhsa_forward_progress 1
		.amdhsa_inst_pref_size 4
		.amdhsa_round_robin_scheduling 0
		.amdhsa_exception_fp_ieee_invalid_op 0
		.amdhsa_exception_fp_denorm_src 0
		.amdhsa_exception_fp_ieee_div_zero 0
		.amdhsa_exception_fp_ieee_overflow 0
		.amdhsa_exception_fp_ieee_underflow 0
		.amdhsa_exception_fp_ieee_inexact 0
		.amdhsa_exception_int_div_zero 0
	.end_amdhsa_kernel
	.section	.text._Z17warp_store_kernelILj256ELj8ELj32ELN6hipcub18WarpStoreAlgorithmE3EdEvPT3_,"axG",@progbits,_Z17warp_store_kernelILj256ELj8ELj32ELN6hipcub18WarpStoreAlgorithmE3EdEvPT3_,comdat
.Lfunc_end26:
	.size	_Z17warp_store_kernelILj256ELj8ELj32ELN6hipcub18WarpStoreAlgorithmE3EdEvPT3_, .Lfunc_end26-_Z17warp_store_kernelILj256ELj8ELj32ELN6hipcub18WarpStoreAlgorithmE3EdEvPT3_
                                        ; -- End function
	.set _Z17warp_store_kernelILj256ELj8ELj32ELN6hipcub18WarpStoreAlgorithmE3EdEvPT3_.num_vgpr, 21
	.set _Z17warp_store_kernelILj256ELj8ELj32ELN6hipcub18WarpStoreAlgorithmE3EdEvPT3_.num_agpr, 0
	.set _Z17warp_store_kernelILj256ELj8ELj32ELN6hipcub18WarpStoreAlgorithmE3EdEvPT3_.numbered_sgpr, 5
	.set _Z17warp_store_kernelILj256ELj8ELj32ELN6hipcub18WarpStoreAlgorithmE3EdEvPT3_.num_named_barrier, 0
	.set _Z17warp_store_kernelILj256ELj8ELj32ELN6hipcub18WarpStoreAlgorithmE3EdEvPT3_.private_seg_size, 0
	.set _Z17warp_store_kernelILj256ELj8ELj32ELN6hipcub18WarpStoreAlgorithmE3EdEvPT3_.uses_vcc, 0
	.set _Z17warp_store_kernelILj256ELj8ELj32ELN6hipcub18WarpStoreAlgorithmE3EdEvPT3_.uses_flat_scratch, 0
	.set _Z17warp_store_kernelILj256ELj8ELj32ELN6hipcub18WarpStoreAlgorithmE3EdEvPT3_.has_dyn_sized_stack, 0
	.set _Z17warp_store_kernelILj256ELj8ELj32ELN6hipcub18WarpStoreAlgorithmE3EdEvPT3_.has_recursion, 0
	.set _Z17warp_store_kernelILj256ELj8ELj32ELN6hipcub18WarpStoreAlgorithmE3EdEvPT3_.has_indirect_call, 0
	.section	.AMDGPU.csdata,"",@progbits
; Kernel info:
; codeLenInByte = 408
; TotalNumSgprs: 5
; NumVgprs: 21
; ScratchSize: 0
; MemoryBound: 1
; FloatMode: 240
; IeeeMode: 1
; LDSByteSize: 16384 bytes/workgroup (compile time only)
; SGPRBlocks: 0
; VGPRBlocks: 1
; NumSGPRsForWavesPerEU: 5
; NumVGPRsForWavesPerEU: 21
; NamedBarCnt: 0
; Occupancy: 16
; WaveLimiterHint : 1
; COMPUTE_PGM_RSRC2:SCRATCH_EN: 0
; COMPUTE_PGM_RSRC2:USER_SGPR: 2
; COMPUTE_PGM_RSRC2:TRAP_HANDLER: 0
; COMPUTE_PGM_RSRC2:TGID_X_EN: 1
; COMPUTE_PGM_RSRC2:TGID_Y_EN: 0
; COMPUTE_PGM_RSRC2:TGID_Z_EN: 0
; COMPUTE_PGM_RSRC2:TIDIG_COMP_CNT: 0
	.section	.text._Z17warp_store_kernelILj256ELj16ELj32ELN6hipcub18WarpStoreAlgorithmE0EdEvPT3_,"axG",@progbits,_Z17warp_store_kernelILj256ELj16ELj32ELN6hipcub18WarpStoreAlgorithmE0EdEvPT3_,comdat
	.protected	_Z17warp_store_kernelILj256ELj16ELj32ELN6hipcub18WarpStoreAlgorithmE0EdEvPT3_ ; -- Begin function _Z17warp_store_kernelILj256ELj16ELj32ELN6hipcub18WarpStoreAlgorithmE0EdEvPT3_
	.globl	_Z17warp_store_kernelILj256ELj16ELj32ELN6hipcub18WarpStoreAlgorithmE0EdEvPT3_
	.p2align	8
	.type	_Z17warp_store_kernelILj256ELj16ELj32ELN6hipcub18WarpStoreAlgorithmE0EdEvPT3_,@function
_Z17warp_store_kernelILj256ELj16ELj32ELN6hipcub18WarpStoreAlgorithmE0EdEvPT3_: ; @_Z17warp_store_kernelILj256ELj16ELj32ELN6hipcub18WarpStoreAlgorithmE0EdEvPT3_
; %bb.0:
	s_load_b64 s[0:1], s[0:1], 0x0
	s_bfe_u32 s2, ttmp6, 0x4000c
	s_and_b32 s3, ttmp6, 15
	s_add_co_i32 s2, s2, 1
	s_getreg_b32 s4, hwreg(HW_REG_IB_STS2, 6, 4)
	s_mul_i32 s2, ttmp9, s2
	v_dual_mov_b32 v1, 0 :: v_dual_lshlrev_b32 v0, 4, v0
	s_add_co_i32 s3, s3, s2
	s_cmp_eq_u32 s4, 0
	v_mbcnt_lo_u32_b32 v2, -1, 0
	s_cselect_b32 s2, ttmp9, s3
	v_mov_b32_e32 v3, 0x3ff00000
	s_lshl_b32 s2, s2, 12
	v_mov_b32_e32 v5, 2.0
	v_and_or_b32 v0, 0xe00, v0, s2
	v_mov_b32_e32 v9, 0x40100000
	v_dual_mov_b32 v7, 0x40080000 :: v_dual_mov_b32 v4, v1
	v_dual_mov_b32 v11, 0x40140000 :: v_dual_mov_b32 v6, v1
	s_wait_kmcnt 0x0
	v_lshl_add_u64 v[16:17], v[0:1], 3, s[0:1]
	v_dual_lshlrev_b32 v0, 7, v2 :: v_dual_mov_b32 v2, v1
	v_dual_mov_b32 v13, 0x40180000 :: v_dual_mov_b32 v8, v1
	v_dual_mov_b32 v15, 0x401c0000 :: v_dual_mov_b32 v10, v1
	s_delay_alu instid0(VALU_DEP_3)
	v_add_nc_u64_e32 v[28:29], v[16:17], v[0:1]
	v_dual_mov_b32 v0, v1 :: v_dual_mov_b32 v12, v1
	v_mov_b32_e32 v14, v1
	s_clause 0x1
	global_store_b128 v[28:29], v[0:3], off
	global_store_b128 v[28:29], v[4:7], off offset:16
	s_wait_xcnt 0x1
	v_dual_mov_b32 v3, 0x40200000 :: v_dual_mov_b32 v16, v1
	s_wait_xcnt 0x0
	v_dual_mov_b32 v5, 0x40220000 :: v_dual_mov_b32 v18, v1
	v_dual_mov_b32 v17, 0x40240000 :: v_dual_mov_b32 v20, v1
	;; [unrolled: 1-line block ×5, first 2 shown]
	v_mov_b32_e32 v25, 0x402c0000
	v_mov_b32_e32 v27, 0x402e0000
	s_clause 0x5
	global_store_b128 v[28:29], v[8:11], off offset:32
	global_store_b128 v[28:29], v[12:15], off offset:48
	;; [unrolled: 1-line block ×6, first 2 shown]
	s_endpgm
	.section	.rodata,"a",@progbits
	.p2align	6, 0x0
	.amdhsa_kernel _Z17warp_store_kernelILj256ELj16ELj32ELN6hipcub18WarpStoreAlgorithmE0EdEvPT3_
		.amdhsa_group_segment_fixed_size 0
		.amdhsa_private_segment_fixed_size 0
		.amdhsa_kernarg_size 8
		.amdhsa_user_sgpr_count 2
		.amdhsa_user_sgpr_dispatch_ptr 0
		.amdhsa_user_sgpr_queue_ptr 0
		.amdhsa_user_sgpr_kernarg_segment_ptr 1
		.amdhsa_user_sgpr_dispatch_id 0
		.amdhsa_user_sgpr_kernarg_preload_length 0
		.amdhsa_user_sgpr_kernarg_preload_offset 0
		.amdhsa_user_sgpr_private_segment_size 0
		.amdhsa_wavefront_size32 1
		.amdhsa_uses_dynamic_stack 0
		.amdhsa_enable_private_segment 0
		.amdhsa_system_sgpr_workgroup_id_x 1
		.amdhsa_system_sgpr_workgroup_id_y 0
		.amdhsa_system_sgpr_workgroup_id_z 0
		.amdhsa_system_sgpr_workgroup_info 0
		.amdhsa_system_vgpr_workitem_id 0
		.amdhsa_next_free_vgpr 30
		.amdhsa_next_free_sgpr 5
		.amdhsa_named_barrier_count 0
		.amdhsa_reserve_vcc 0
		.amdhsa_float_round_mode_32 0
		.amdhsa_float_round_mode_16_64 0
		.amdhsa_float_denorm_mode_32 3
		.amdhsa_float_denorm_mode_16_64 3
		.amdhsa_fp16_overflow 0
		.amdhsa_memory_ordered 1
		.amdhsa_forward_progress 1
		.amdhsa_inst_pref_size 4
		.amdhsa_round_robin_scheduling 0
		.amdhsa_exception_fp_ieee_invalid_op 0
		.amdhsa_exception_fp_denorm_src 0
		.amdhsa_exception_fp_ieee_div_zero 0
		.amdhsa_exception_fp_ieee_overflow 0
		.amdhsa_exception_fp_ieee_underflow 0
		.amdhsa_exception_fp_ieee_inexact 0
		.amdhsa_exception_int_div_zero 0
	.end_amdhsa_kernel
	.section	.text._Z17warp_store_kernelILj256ELj16ELj32ELN6hipcub18WarpStoreAlgorithmE0EdEvPT3_,"axG",@progbits,_Z17warp_store_kernelILj256ELj16ELj32ELN6hipcub18WarpStoreAlgorithmE0EdEvPT3_,comdat
.Lfunc_end27:
	.size	_Z17warp_store_kernelILj256ELj16ELj32ELN6hipcub18WarpStoreAlgorithmE0EdEvPT3_, .Lfunc_end27-_Z17warp_store_kernelILj256ELj16ELj32ELN6hipcub18WarpStoreAlgorithmE0EdEvPT3_
                                        ; -- End function
	.set _Z17warp_store_kernelILj256ELj16ELj32ELN6hipcub18WarpStoreAlgorithmE0EdEvPT3_.num_vgpr, 30
	.set _Z17warp_store_kernelILj256ELj16ELj32ELN6hipcub18WarpStoreAlgorithmE0EdEvPT3_.num_agpr, 0
	.set _Z17warp_store_kernelILj256ELj16ELj32ELN6hipcub18WarpStoreAlgorithmE0EdEvPT3_.numbered_sgpr, 5
	.set _Z17warp_store_kernelILj256ELj16ELj32ELN6hipcub18WarpStoreAlgorithmE0EdEvPT3_.num_named_barrier, 0
	.set _Z17warp_store_kernelILj256ELj16ELj32ELN6hipcub18WarpStoreAlgorithmE0EdEvPT3_.private_seg_size, 0
	.set _Z17warp_store_kernelILj256ELj16ELj32ELN6hipcub18WarpStoreAlgorithmE0EdEvPT3_.uses_vcc, 0
	.set _Z17warp_store_kernelILj256ELj16ELj32ELN6hipcub18WarpStoreAlgorithmE0EdEvPT3_.uses_flat_scratch, 0
	.set _Z17warp_store_kernelILj256ELj16ELj32ELN6hipcub18WarpStoreAlgorithmE0EdEvPT3_.has_dyn_sized_stack, 0
	.set _Z17warp_store_kernelILj256ELj16ELj32ELN6hipcub18WarpStoreAlgorithmE0EdEvPT3_.has_recursion, 0
	.set _Z17warp_store_kernelILj256ELj16ELj32ELN6hipcub18WarpStoreAlgorithmE0EdEvPT3_.has_indirect_call, 0
	.section	.AMDGPU.csdata,"",@progbits
; Kernel info:
; codeLenInByte = 396
; TotalNumSgprs: 5
; NumVgprs: 30
; ScratchSize: 0
; MemoryBound: 1
; FloatMode: 240
; IeeeMode: 1
; LDSByteSize: 0 bytes/workgroup (compile time only)
; SGPRBlocks: 0
; VGPRBlocks: 1
; NumSGPRsForWavesPerEU: 5
; NumVGPRsForWavesPerEU: 30
; NamedBarCnt: 0
; Occupancy: 16
; WaveLimiterHint : 1
; COMPUTE_PGM_RSRC2:SCRATCH_EN: 0
; COMPUTE_PGM_RSRC2:USER_SGPR: 2
; COMPUTE_PGM_RSRC2:TRAP_HANDLER: 0
; COMPUTE_PGM_RSRC2:TGID_X_EN: 1
; COMPUTE_PGM_RSRC2:TGID_Y_EN: 0
; COMPUTE_PGM_RSRC2:TGID_Z_EN: 0
; COMPUTE_PGM_RSRC2:TIDIG_COMP_CNT: 0
	.section	.text._Z17warp_store_kernelILj256ELj16ELj32ELN6hipcub18WarpStoreAlgorithmE1EdEvPT3_,"axG",@progbits,_Z17warp_store_kernelILj256ELj16ELj32ELN6hipcub18WarpStoreAlgorithmE1EdEvPT3_,comdat
	.protected	_Z17warp_store_kernelILj256ELj16ELj32ELN6hipcub18WarpStoreAlgorithmE1EdEvPT3_ ; -- Begin function _Z17warp_store_kernelILj256ELj16ELj32ELN6hipcub18WarpStoreAlgorithmE1EdEvPT3_
	.globl	_Z17warp_store_kernelILj256ELj16ELj32ELN6hipcub18WarpStoreAlgorithmE1EdEvPT3_
	.p2align	8
	.type	_Z17warp_store_kernelILj256ELj16ELj32ELN6hipcub18WarpStoreAlgorithmE1EdEvPT3_,@function
_Z17warp_store_kernelILj256ELj16ELj32ELN6hipcub18WarpStoreAlgorithmE1EdEvPT3_: ; @_Z17warp_store_kernelILj256ELj16ELj32ELN6hipcub18WarpStoreAlgorithmE1EdEvPT3_
; %bb.0:
	s_load_b64 s[0:1], s[0:1], 0x0
	s_bfe_u32 s2, ttmp6, 0x4000c
	s_and_b32 s3, ttmp6, 15
	s_add_co_i32 s2, s2, 1
	s_getreg_b32 s4, hwreg(HW_REG_IB_STS2, 6, 4)
	s_mul_i32 s2, ttmp9, s2
	v_dual_mov_b32 v1, 0 :: v_dual_lshlrev_b32 v0, 4, v0
	s_add_co_i32 s3, s3, s2
	s_cmp_eq_u32 s4, 0
	v_mbcnt_lo_u32_b32 v4, -1, 0
	s_cselect_b32 s2, ttmp9, s3
	v_mov_b64_e32 v[6:7], 1.0
	s_lshl_b32 s2, s2, 12
	v_mov_b64_e32 v[8:9], 0x4008000000000000
	v_and_or_b32 v0, 0xe00, v0, s2
	v_mov_b64_e32 v[10:11], 4.0
	v_mov_b64_e32 v[12:13], 0x4014000000000000
	v_mov_b64_e32 v[14:15], 0x4018000000000000
	;; [unrolled: 1-line block ×3, first 2 shown]
	s_wait_kmcnt 0x0
	v_lshl_add_u64 v[2:3], v[0:1], 3, s[0:1]
	v_lshlrev_b32_e32 v0, 3, v4
	v_mov_b64_e32 v[4:5], 0
	s_delay_alu instid0(VALU_DEP_2)
	v_add_nc_u64_e32 v[0:1], v[2:3], v[0:1]
	v_mov_b64_e32 v[2:3], 2.0
	s_clause 0x7
	global_store_b64 v[0:1], v[4:5], off
	global_store_b64 v[0:1], v[6:7], off offset:256
	global_store_b64 v[0:1], v[2:3], off offset:512
	;; [unrolled: 1-line block ×7, first 2 shown]
	s_wait_xcnt 0x5
	v_mov_b64_e32 v[2:3], 0x4020000000000000
	v_mov_b64_e32 v[4:5], 0x4022000000000000
	;; [unrolled: 1-line block ×3, first 2 shown]
	s_wait_xcnt 0x4
	v_mov_b64_e32 v[8:9], 0x4026000000000000
	s_wait_xcnt 0x3
	v_mov_b64_e32 v[10:11], 0x4028000000000000
	;; [unrolled: 2-line block ×5, first 2 shown]
	s_clause 0x7
	global_store_b64 v[0:1], v[2:3], off offset:2048
	global_store_b64 v[0:1], v[4:5], off offset:2304
	global_store_b64 v[0:1], v[6:7], off offset:2560
	global_store_b64 v[0:1], v[8:9], off offset:2816
	global_store_b64 v[0:1], v[10:11], off offset:3072
	global_store_b64 v[0:1], v[12:13], off offset:3328
	global_store_b64 v[0:1], v[14:15], off offset:3584
	global_store_b64 v[0:1], v[16:17], off offset:3840
	s_endpgm
	.section	.rodata,"a",@progbits
	.p2align	6, 0x0
	.amdhsa_kernel _Z17warp_store_kernelILj256ELj16ELj32ELN6hipcub18WarpStoreAlgorithmE1EdEvPT3_
		.amdhsa_group_segment_fixed_size 0
		.amdhsa_private_segment_fixed_size 0
		.amdhsa_kernarg_size 8
		.amdhsa_user_sgpr_count 2
		.amdhsa_user_sgpr_dispatch_ptr 0
		.amdhsa_user_sgpr_queue_ptr 0
		.amdhsa_user_sgpr_kernarg_segment_ptr 1
		.amdhsa_user_sgpr_dispatch_id 0
		.amdhsa_user_sgpr_kernarg_preload_length 0
		.amdhsa_user_sgpr_kernarg_preload_offset 0
		.amdhsa_user_sgpr_private_segment_size 0
		.amdhsa_wavefront_size32 1
		.amdhsa_uses_dynamic_stack 0
		.amdhsa_enable_private_segment 0
		.amdhsa_system_sgpr_workgroup_id_x 1
		.amdhsa_system_sgpr_workgroup_id_y 0
		.amdhsa_system_sgpr_workgroup_id_z 0
		.amdhsa_system_sgpr_workgroup_info 0
		.amdhsa_system_vgpr_workitem_id 0
		.amdhsa_next_free_vgpr 18
		.amdhsa_next_free_sgpr 5
		.amdhsa_named_barrier_count 0
		.amdhsa_reserve_vcc 0
		.amdhsa_float_round_mode_32 0
		.amdhsa_float_round_mode_16_64 0
		.amdhsa_float_denorm_mode_32 3
		.amdhsa_float_denorm_mode_16_64 3
		.amdhsa_fp16_overflow 0
		.amdhsa_memory_ordered 1
		.amdhsa_forward_progress 1
		.amdhsa_inst_pref_size 4
		.amdhsa_round_robin_scheduling 0
		.amdhsa_exception_fp_ieee_invalid_op 0
		.amdhsa_exception_fp_denorm_src 0
		.amdhsa_exception_fp_ieee_div_zero 0
		.amdhsa_exception_fp_ieee_overflow 0
		.amdhsa_exception_fp_ieee_underflow 0
		.amdhsa_exception_fp_ieee_inexact 0
		.amdhsa_exception_int_div_zero 0
	.end_amdhsa_kernel
	.section	.text._Z17warp_store_kernelILj256ELj16ELj32ELN6hipcub18WarpStoreAlgorithmE1EdEvPT3_,"axG",@progbits,_Z17warp_store_kernelILj256ELj16ELj32ELN6hipcub18WarpStoreAlgorithmE1EdEvPT3_,comdat
.Lfunc_end28:
	.size	_Z17warp_store_kernelILj256ELj16ELj32ELN6hipcub18WarpStoreAlgorithmE1EdEvPT3_, .Lfunc_end28-_Z17warp_store_kernelILj256ELj16ELj32ELN6hipcub18WarpStoreAlgorithmE1EdEvPT3_
                                        ; -- End function
	.set _Z17warp_store_kernelILj256ELj16ELj32ELN6hipcub18WarpStoreAlgorithmE1EdEvPT3_.num_vgpr, 18
	.set _Z17warp_store_kernelILj256ELj16ELj32ELN6hipcub18WarpStoreAlgorithmE1EdEvPT3_.num_agpr, 0
	.set _Z17warp_store_kernelILj256ELj16ELj32ELN6hipcub18WarpStoreAlgorithmE1EdEvPT3_.numbered_sgpr, 5
	.set _Z17warp_store_kernelILj256ELj16ELj32ELN6hipcub18WarpStoreAlgorithmE1EdEvPT3_.num_named_barrier, 0
	.set _Z17warp_store_kernelILj256ELj16ELj32ELN6hipcub18WarpStoreAlgorithmE1EdEvPT3_.private_seg_size, 0
	.set _Z17warp_store_kernelILj256ELj16ELj32ELN6hipcub18WarpStoreAlgorithmE1EdEvPT3_.uses_vcc, 0
	.set _Z17warp_store_kernelILj256ELj16ELj32ELN6hipcub18WarpStoreAlgorithmE1EdEvPT3_.uses_flat_scratch, 0
	.set _Z17warp_store_kernelILj256ELj16ELj32ELN6hipcub18WarpStoreAlgorithmE1EdEvPT3_.has_dyn_sized_stack, 0
	.set _Z17warp_store_kernelILj256ELj16ELj32ELN6hipcub18WarpStoreAlgorithmE1EdEvPT3_.has_recursion, 0
	.set _Z17warp_store_kernelILj256ELj16ELj32ELN6hipcub18WarpStoreAlgorithmE1EdEvPT3_.has_indirect_call, 0
	.section	.AMDGPU.csdata,"",@progbits
; Kernel info:
; codeLenInByte = 488
; TotalNumSgprs: 5
; NumVgprs: 18
; ScratchSize: 0
; MemoryBound: 1
; FloatMode: 240
; IeeeMode: 1
; LDSByteSize: 0 bytes/workgroup (compile time only)
; SGPRBlocks: 0
; VGPRBlocks: 1
; NumSGPRsForWavesPerEU: 5
; NumVGPRsForWavesPerEU: 18
; NamedBarCnt: 0
; Occupancy: 16
; WaveLimiterHint : 1
; COMPUTE_PGM_RSRC2:SCRATCH_EN: 0
; COMPUTE_PGM_RSRC2:USER_SGPR: 2
; COMPUTE_PGM_RSRC2:TRAP_HANDLER: 0
; COMPUTE_PGM_RSRC2:TGID_X_EN: 1
; COMPUTE_PGM_RSRC2:TGID_Y_EN: 0
; COMPUTE_PGM_RSRC2:TGID_Z_EN: 0
; COMPUTE_PGM_RSRC2:TIDIG_COMP_CNT: 0
	.section	.text._Z17warp_store_kernelILj256ELj16ELj32ELN6hipcub18WarpStoreAlgorithmE2EdEvPT3_,"axG",@progbits,_Z17warp_store_kernelILj256ELj16ELj32ELN6hipcub18WarpStoreAlgorithmE2EdEvPT3_,comdat
	.protected	_Z17warp_store_kernelILj256ELj16ELj32ELN6hipcub18WarpStoreAlgorithmE2EdEvPT3_ ; -- Begin function _Z17warp_store_kernelILj256ELj16ELj32ELN6hipcub18WarpStoreAlgorithmE2EdEvPT3_
	.globl	_Z17warp_store_kernelILj256ELj16ELj32ELN6hipcub18WarpStoreAlgorithmE2EdEvPT3_
	.p2align	8
	.type	_Z17warp_store_kernelILj256ELj16ELj32ELN6hipcub18WarpStoreAlgorithmE2EdEvPT3_,@function
_Z17warp_store_kernelILj256ELj16ELj32ELN6hipcub18WarpStoreAlgorithmE2EdEvPT3_: ; @_Z17warp_store_kernelILj256ELj16ELj32ELN6hipcub18WarpStoreAlgorithmE2EdEvPT3_
; %bb.0:
	s_load_b64 s[0:1], s[0:1], 0x0
	s_bfe_u32 s2, ttmp6, 0x4000c
	s_and_b32 s3, ttmp6, 15
	s_add_co_i32 s2, s2, 1
	s_getreg_b32 s4, hwreg(HW_REG_IB_STS2, 6, 4)
	s_mul_i32 s2, ttmp9, s2
	v_dual_mov_b32 v1, 0 :: v_dual_lshlrev_b32 v0, 4, v0
	s_add_co_i32 s3, s3, s2
	s_cmp_eq_u32 s4, 0
	v_mbcnt_lo_u32_b32 v2, -1, 0
	s_cselect_b32 s2, ttmp9, s3
	v_mov_b32_e32 v3, 0x3ff00000
	s_lshl_b32 s2, s2, 12
	v_mov_b32_e32 v5, 2.0
	v_and_or_b32 v0, 0xe00, v0, s2
	v_mov_b32_e32 v9, 0x40100000
	v_dual_mov_b32 v7, 0x40080000 :: v_dual_mov_b32 v4, v1
	v_dual_mov_b32 v11, 0x40140000 :: v_dual_mov_b32 v6, v1
	s_wait_kmcnt 0x0
	v_lshl_add_u64 v[16:17], v[0:1], 3, s[0:1]
	v_dual_lshlrev_b32 v0, 7, v2 :: v_dual_mov_b32 v2, v1
	v_dual_mov_b32 v13, 0x40180000 :: v_dual_mov_b32 v8, v1
	v_dual_mov_b32 v15, 0x401c0000 :: v_dual_mov_b32 v10, v1
	s_delay_alu instid0(VALU_DEP_3)
	v_add_nc_u64_e32 v[28:29], v[16:17], v[0:1]
	v_dual_mov_b32 v0, v1 :: v_dual_mov_b32 v12, v1
	v_mov_b32_e32 v14, v1
	s_clause 0x1
	global_store_b128 v[28:29], v[0:3], off
	global_store_b128 v[28:29], v[4:7], off offset:16
	s_wait_xcnt 0x1
	v_dual_mov_b32 v3, 0x40200000 :: v_dual_mov_b32 v16, v1
	s_wait_xcnt 0x0
	v_dual_mov_b32 v5, 0x40220000 :: v_dual_mov_b32 v18, v1
	v_dual_mov_b32 v17, 0x40240000 :: v_dual_mov_b32 v20, v1
	;; [unrolled: 1-line block ×5, first 2 shown]
	v_mov_b32_e32 v25, 0x402c0000
	v_mov_b32_e32 v27, 0x402e0000
	s_clause 0x5
	global_store_b128 v[28:29], v[8:11], off offset:32
	global_store_b128 v[28:29], v[12:15], off offset:48
	;; [unrolled: 1-line block ×6, first 2 shown]
	s_endpgm
	.section	.rodata,"a",@progbits
	.p2align	6, 0x0
	.amdhsa_kernel _Z17warp_store_kernelILj256ELj16ELj32ELN6hipcub18WarpStoreAlgorithmE2EdEvPT3_
		.amdhsa_group_segment_fixed_size 0
		.amdhsa_private_segment_fixed_size 0
		.amdhsa_kernarg_size 8
		.amdhsa_user_sgpr_count 2
		.amdhsa_user_sgpr_dispatch_ptr 0
		.amdhsa_user_sgpr_queue_ptr 0
		.amdhsa_user_sgpr_kernarg_segment_ptr 1
		.amdhsa_user_sgpr_dispatch_id 0
		.amdhsa_user_sgpr_kernarg_preload_length 0
		.amdhsa_user_sgpr_kernarg_preload_offset 0
		.amdhsa_user_sgpr_private_segment_size 0
		.amdhsa_wavefront_size32 1
		.amdhsa_uses_dynamic_stack 0
		.amdhsa_enable_private_segment 0
		.amdhsa_system_sgpr_workgroup_id_x 1
		.amdhsa_system_sgpr_workgroup_id_y 0
		.amdhsa_system_sgpr_workgroup_id_z 0
		.amdhsa_system_sgpr_workgroup_info 0
		.amdhsa_system_vgpr_workitem_id 0
		.amdhsa_next_free_vgpr 30
		.amdhsa_next_free_sgpr 5
		.amdhsa_named_barrier_count 0
		.amdhsa_reserve_vcc 0
		.amdhsa_float_round_mode_32 0
		.amdhsa_float_round_mode_16_64 0
		.amdhsa_float_denorm_mode_32 3
		.amdhsa_float_denorm_mode_16_64 3
		.amdhsa_fp16_overflow 0
		.amdhsa_memory_ordered 1
		.amdhsa_forward_progress 1
		.amdhsa_inst_pref_size 4
		.amdhsa_round_robin_scheduling 0
		.amdhsa_exception_fp_ieee_invalid_op 0
		.amdhsa_exception_fp_denorm_src 0
		.amdhsa_exception_fp_ieee_div_zero 0
		.amdhsa_exception_fp_ieee_overflow 0
		.amdhsa_exception_fp_ieee_underflow 0
		.amdhsa_exception_fp_ieee_inexact 0
		.amdhsa_exception_int_div_zero 0
	.end_amdhsa_kernel
	.section	.text._Z17warp_store_kernelILj256ELj16ELj32ELN6hipcub18WarpStoreAlgorithmE2EdEvPT3_,"axG",@progbits,_Z17warp_store_kernelILj256ELj16ELj32ELN6hipcub18WarpStoreAlgorithmE2EdEvPT3_,comdat
.Lfunc_end29:
	.size	_Z17warp_store_kernelILj256ELj16ELj32ELN6hipcub18WarpStoreAlgorithmE2EdEvPT3_, .Lfunc_end29-_Z17warp_store_kernelILj256ELj16ELj32ELN6hipcub18WarpStoreAlgorithmE2EdEvPT3_
                                        ; -- End function
	.set _Z17warp_store_kernelILj256ELj16ELj32ELN6hipcub18WarpStoreAlgorithmE2EdEvPT3_.num_vgpr, 30
	.set _Z17warp_store_kernelILj256ELj16ELj32ELN6hipcub18WarpStoreAlgorithmE2EdEvPT3_.num_agpr, 0
	.set _Z17warp_store_kernelILj256ELj16ELj32ELN6hipcub18WarpStoreAlgorithmE2EdEvPT3_.numbered_sgpr, 5
	.set _Z17warp_store_kernelILj256ELj16ELj32ELN6hipcub18WarpStoreAlgorithmE2EdEvPT3_.num_named_barrier, 0
	.set _Z17warp_store_kernelILj256ELj16ELj32ELN6hipcub18WarpStoreAlgorithmE2EdEvPT3_.private_seg_size, 0
	.set _Z17warp_store_kernelILj256ELj16ELj32ELN6hipcub18WarpStoreAlgorithmE2EdEvPT3_.uses_vcc, 0
	.set _Z17warp_store_kernelILj256ELj16ELj32ELN6hipcub18WarpStoreAlgorithmE2EdEvPT3_.uses_flat_scratch, 0
	.set _Z17warp_store_kernelILj256ELj16ELj32ELN6hipcub18WarpStoreAlgorithmE2EdEvPT3_.has_dyn_sized_stack, 0
	.set _Z17warp_store_kernelILj256ELj16ELj32ELN6hipcub18WarpStoreAlgorithmE2EdEvPT3_.has_recursion, 0
	.set _Z17warp_store_kernelILj256ELj16ELj32ELN6hipcub18WarpStoreAlgorithmE2EdEvPT3_.has_indirect_call, 0
	.section	.AMDGPU.csdata,"",@progbits
; Kernel info:
; codeLenInByte = 396
; TotalNumSgprs: 5
; NumVgprs: 30
; ScratchSize: 0
; MemoryBound: 1
; FloatMode: 240
; IeeeMode: 1
; LDSByteSize: 0 bytes/workgroup (compile time only)
; SGPRBlocks: 0
; VGPRBlocks: 1
; NumSGPRsForWavesPerEU: 5
; NumVGPRsForWavesPerEU: 30
; NamedBarCnt: 0
; Occupancy: 16
; WaveLimiterHint : 1
; COMPUTE_PGM_RSRC2:SCRATCH_EN: 0
; COMPUTE_PGM_RSRC2:USER_SGPR: 2
; COMPUTE_PGM_RSRC2:TRAP_HANDLER: 0
; COMPUTE_PGM_RSRC2:TGID_X_EN: 1
; COMPUTE_PGM_RSRC2:TGID_Y_EN: 0
; COMPUTE_PGM_RSRC2:TGID_Z_EN: 0
; COMPUTE_PGM_RSRC2:TIDIG_COMP_CNT: 0
	.section	.text._Z17warp_store_kernelILj256ELj16ELj32ELN6hipcub18WarpStoreAlgorithmE3EdEvPT3_,"axG",@progbits,_Z17warp_store_kernelILj256ELj16ELj32ELN6hipcub18WarpStoreAlgorithmE3EdEvPT3_,comdat
	.protected	_Z17warp_store_kernelILj256ELj16ELj32ELN6hipcub18WarpStoreAlgorithmE3EdEvPT3_ ; -- Begin function _Z17warp_store_kernelILj256ELj16ELj32ELN6hipcub18WarpStoreAlgorithmE3EdEvPT3_
	.globl	_Z17warp_store_kernelILj256ELj16ELj32ELN6hipcub18WarpStoreAlgorithmE3EdEvPT3_
	.p2align	8
	.type	_Z17warp_store_kernelILj256ELj16ELj32ELN6hipcub18WarpStoreAlgorithmE3EdEvPT3_,@function
_Z17warp_store_kernelILj256ELj16ELj32ELN6hipcub18WarpStoreAlgorithmE3EdEvPT3_: ; @_Z17warp_store_kernelILj256ELj16ELj32ELN6hipcub18WarpStoreAlgorithmE3EdEvPT3_
; %bb.0:
	s_load_b64 s[0:1], s[0:1], 0x0
	s_bfe_u32 s2, ttmp6, 0x4000c
	s_and_b32 s3, ttmp6, 15
	s_add_co_i32 s2, s2, 1
	s_getreg_b32 s4, hwreg(HW_REG_IB_STS2, 6, 4)
	s_mul_i32 s2, ttmp9, s2
	v_mbcnt_lo_u32_b32 v22, -1, 0
	s_add_co_i32 s3, s3, s2
	s_cmp_eq_u32 s4, 0
	v_dual_mov_b32 v1, 0 :: v_dual_lshrrev_b32 v4, 5, v0
	s_cselect_b32 s2, ttmp9, s3
	v_dual_mov_b32 v3, 0x3ff00000 :: v_dual_lshlrev_b32 v6, 7, v22
	s_lshl_b32 s2, s2, 12
	s_delay_alu instid0(VALU_DEP_2) | instskip(SKIP_1) | instid1(VALU_DEP_3)
	v_dual_mov_b32 v5, 2.0 :: v_dual_mov_b32 v2, v1
	v_lshl_or_b32 v0, v4, 9, s2
	v_lshl_or_b32 v18, v4, 12, v6
	v_dual_mov_b32 v4, v1 :: v_dual_mov_b32 v6, v1
	v_mov_b32_e32 v7, 0x40080000
	s_wait_kmcnt 0x0
	v_lshl_add_u64 v[30:31], v[0:1], 3, s[0:1]
	v_dual_mov_b32 v0, v1 :: v_dual_mov_b32 v9, 0x40100000
	v_dual_mov_b32 v8, v1 :: v_dual_mov_b32 v11, 0x40140000
	;; [unrolled: 1-line block ×4, first 2 shown]
	v_mov_b32_e32 v14, v1
	ds_store_b128 v18, v[0:3]
	ds_store_b128 v18, v[4:7] offset:16
	ds_store_b128 v18, v[8:11] offset:32
	ds_store_b128 v18, v[12:15] offset:48
	v_mad_i32_i24 v0, 0xffffff88, v22, v18
	v_dual_mov_b32 v3, 0x40200000 :: v_dual_mov_b32 v16, v1
	v_mov_b32_e32 v5, 0x40220000
	v_mov_b32_e32 v11, 0x40280000
	;; [unrolled: 1-line block ×3, first 2 shown]
	v_add_nc_u32_e32 v32, 0x800, v0
	v_mov_b32_e32 v7, 0x40240000
	v_mov_b32_e32 v9, 0x40260000
	;; [unrolled: 1-line block ×4, first 2 shown]
	ds_store_b128 v18, v[2:5] offset:64
	ds_store_b128 v18, v[6:9] offset:80
	;; [unrolled: 1-line block ×4, first 2 shown]
	; wave barrier
	ds_load_2addr_b64 v[2:5], v0 offset1:32
	ds_load_2addr_b64 v[6:9], v0 offset0:64 offset1:96
	ds_load_2addr_b64 v[10:13], v0 offset0:128 offset1:160
	;; [unrolled: 1-line block ×3, first 2 shown]
	ds_load_2addr_b64 v[18:21], v32 offset1:32
	v_lshlrev_b32_e32 v0, 3, v22
	ds_load_2addr_b64 v[22:25], v32 offset0:64 offset1:96
	ds_load_2addr_b64 v[26:29], v32 offset0:128 offset1:160
	v_add_nc_u64_e32 v[0:1], v[30:31], v[0:1]
	ds_load_2addr_b64 v[30:33], v32 offset0:192 offset1:224
	s_wait_dscnt 0x7
	s_clause 0x1
	global_store_b64 v[0:1], v[2:3], off
	global_store_b64 v[0:1], v[4:5], off offset:256
	s_wait_dscnt 0x6
	s_clause 0x1
	global_store_b64 v[0:1], v[6:7], off offset:512
	global_store_b64 v[0:1], v[8:9], off offset:768
	s_wait_dscnt 0x5
	s_clause 0x1
	global_store_b64 v[0:1], v[10:11], off offset:1024
	;; [unrolled: 4-line block ×7, first 2 shown]
	global_store_b64 v[0:1], v[32:33], off offset:3840
	s_endpgm
	.section	.rodata,"a",@progbits
	.p2align	6, 0x0
	.amdhsa_kernel _Z17warp_store_kernelILj256ELj16ELj32ELN6hipcub18WarpStoreAlgorithmE3EdEvPT3_
		.amdhsa_group_segment_fixed_size 32768
		.amdhsa_private_segment_fixed_size 0
		.amdhsa_kernarg_size 8
		.amdhsa_user_sgpr_count 2
		.amdhsa_user_sgpr_dispatch_ptr 0
		.amdhsa_user_sgpr_queue_ptr 0
		.amdhsa_user_sgpr_kernarg_segment_ptr 1
		.amdhsa_user_sgpr_dispatch_id 0
		.amdhsa_user_sgpr_kernarg_preload_length 0
		.amdhsa_user_sgpr_kernarg_preload_offset 0
		.amdhsa_user_sgpr_private_segment_size 0
		.amdhsa_wavefront_size32 1
		.amdhsa_uses_dynamic_stack 0
		.amdhsa_enable_private_segment 0
		.amdhsa_system_sgpr_workgroup_id_x 1
		.amdhsa_system_sgpr_workgroup_id_y 0
		.amdhsa_system_sgpr_workgroup_id_z 0
		.amdhsa_system_sgpr_workgroup_info 0
		.amdhsa_system_vgpr_workitem_id 0
		.amdhsa_next_free_vgpr 34
		.amdhsa_next_free_sgpr 5
		.amdhsa_named_barrier_count 0
		.amdhsa_reserve_vcc 0
		.amdhsa_float_round_mode_32 0
		.amdhsa_float_round_mode_16_64 0
		.amdhsa_float_denorm_mode_32 3
		.amdhsa_float_denorm_mode_16_64 3
		.amdhsa_fp16_overflow 0
		.amdhsa_memory_ordered 1
		.amdhsa_forward_progress 1
		.amdhsa_inst_pref_size 6
		.amdhsa_round_robin_scheduling 0
		.amdhsa_exception_fp_ieee_invalid_op 0
		.amdhsa_exception_fp_denorm_src 0
		.amdhsa_exception_fp_ieee_div_zero 0
		.amdhsa_exception_fp_ieee_overflow 0
		.amdhsa_exception_fp_ieee_underflow 0
		.amdhsa_exception_fp_ieee_inexact 0
		.amdhsa_exception_int_div_zero 0
	.end_amdhsa_kernel
	.section	.text._Z17warp_store_kernelILj256ELj16ELj32ELN6hipcub18WarpStoreAlgorithmE3EdEvPT3_,"axG",@progbits,_Z17warp_store_kernelILj256ELj16ELj32ELN6hipcub18WarpStoreAlgorithmE3EdEvPT3_,comdat
.Lfunc_end30:
	.size	_Z17warp_store_kernelILj256ELj16ELj32ELN6hipcub18WarpStoreAlgorithmE3EdEvPT3_, .Lfunc_end30-_Z17warp_store_kernelILj256ELj16ELj32ELN6hipcub18WarpStoreAlgorithmE3EdEvPT3_
                                        ; -- End function
	.set _Z17warp_store_kernelILj256ELj16ELj32ELN6hipcub18WarpStoreAlgorithmE3EdEvPT3_.num_vgpr, 34
	.set _Z17warp_store_kernelILj256ELj16ELj32ELN6hipcub18WarpStoreAlgorithmE3EdEvPT3_.num_agpr, 0
	.set _Z17warp_store_kernelILj256ELj16ELj32ELN6hipcub18WarpStoreAlgorithmE3EdEvPT3_.numbered_sgpr, 5
	.set _Z17warp_store_kernelILj256ELj16ELj32ELN6hipcub18WarpStoreAlgorithmE3EdEvPT3_.num_named_barrier, 0
	.set _Z17warp_store_kernelILj256ELj16ELj32ELN6hipcub18WarpStoreAlgorithmE3EdEvPT3_.private_seg_size, 0
	.set _Z17warp_store_kernelILj256ELj16ELj32ELN6hipcub18WarpStoreAlgorithmE3EdEvPT3_.uses_vcc, 0
	.set _Z17warp_store_kernelILj256ELj16ELj32ELN6hipcub18WarpStoreAlgorithmE3EdEvPT3_.uses_flat_scratch, 0
	.set _Z17warp_store_kernelILj256ELj16ELj32ELN6hipcub18WarpStoreAlgorithmE3EdEvPT3_.has_dyn_sized_stack, 0
	.set _Z17warp_store_kernelILj256ELj16ELj32ELN6hipcub18WarpStoreAlgorithmE3EdEvPT3_.has_recursion, 0
	.set _Z17warp_store_kernelILj256ELj16ELj32ELN6hipcub18WarpStoreAlgorithmE3EdEvPT3_.has_indirect_call, 0
	.section	.AMDGPU.csdata,"",@progbits
; Kernel info:
; codeLenInByte = 672
; TotalNumSgprs: 5
; NumVgprs: 34
; ScratchSize: 0
; MemoryBound: 1
; FloatMode: 240
; IeeeMode: 1
; LDSByteSize: 32768 bytes/workgroup (compile time only)
; SGPRBlocks: 0
; VGPRBlocks: 2
; NumSGPRsForWavesPerEU: 5
; NumVGPRsForWavesPerEU: 34
; NamedBarCnt: 0
; Occupancy: 16
; WaveLimiterHint : 1
; COMPUTE_PGM_RSRC2:SCRATCH_EN: 0
; COMPUTE_PGM_RSRC2:USER_SGPR: 2
; COMPUTE_PGM_RSRC2:TRAP_HANDLER: 0
; COMPUTE_PGM_RSRC2:TGID_X_EN: 1
; COMPUTE_PGM_RSRC2:TGID_Y_EN: 0
; COMPUTE_PGM_RSRC2:TGID_Z_EN: 0
; COMPUTE_PGM_RSRC2:TIDIG_COMP_CNT: 0
	.section	.text._Z17warp_store_kernelILj256ELj32ELj32ELN6hipcub18WarpStoreAlgorithmE0EdEvPT3_,"axG",@progbits,_Z17warp_store_kernelILj256ELj32ELj32ELN6hipcub18WarpStoreAlgorithmE0EdEvPT3_,comdat
	.protected	_Z17warp_store_kernelILj256ELj32ELj32ELN6hipcub18WarpStoreAlgorithmE0EdEvPT3_ ; -- Begin function _Z17warp_store_kernelILj256ELj32ELj32ELN6hipcub18WarpStoreAlgorithmE0EdEvPT3_
	.globl	_Z17warp_store_kernelILj256ELj32ELj32ELN6hipcub18WarpStoreAlgorithmE0EdEvPT3_
	.p2align	8
	.type	_Z17warp_store_kernelILj256ELj32ELj32ELN6hipcub18WarpStoreAlgorithmE0EdEvPT3_,@function
_Z17warp_store_kernelILj256ELj32ELj32ELN6hipcub18WarpStoreAlgorithmE0EdEvPT3_: ; @_Z17warp_store_kernelILj256ELj32ELj32ELN6hipcub18WarpStoreAlgorithmE0EdEvPT3_
; %bb.0:
	s_load_b64 s[0:1], s[0:1], 0x0
	s_bfe_u32 s2, ttmp6, 0x4000c
	s_and_b32 s3, ttmp6, 15
	s_add_co_i32 s2, s2, 1
	s_getreg_b32 s4, hwreg(HW_REG_IB_STS2, 6, 4)
	s_mul_i32 s2, ttmp9, s2
	v_dual_mov_b32 v1, 0 :: v_dual_lshlrev_b32 v0, 5, v0
	s_add_co_i32 s3, s3, s2
	s_cmp_eq_u32 s4, 0
	v_mbcnt_lo_u32_b32 v2, -1, 0
	s_cselect_b32 s2, ttmp9, s3
	v_mov_b32_e32 v3, 0x3ff00000
	s_lshl_b32 s2, s2, 13
	v_mov_b32_e32 v5, 2.0
	v_and_or_b32 v0, 0x1c00, v0, s2
	v_mov_b32_e32 v11, 0x40140000
	v_dual_mov_b32 v7, 0x40080000 :: v_dual_mov_b32 v4, v1
	v_dual_mov_b32 v9, 0x40100000 :: v_dual_mov_b32 v6, v1
	s_wait_kmcnt 0x0
	v_lshl_add_u64 v[12:13], v[0:1], 3, s[0:1]
	v_dual_lshlrev_b32 v0, 8, v2 :: v_dual_mov_b32 v2, v1
	v_dual_mov_b32 v8, v1 :: v_dual_mov_b32 v10, v1
	v_dual_mov_b32 v15, 0x401c0000 :: v_dual_mov_b32 v14, v1
	s_delay_alu instid0(VALU_DEP_3)
	v_add_nc_u64_e32 v[26:27], v[12:13], v[0:1]
	v_dual_mov_b32 v0, v1 :: v_dual_mov_b32 v13, 0x40180000
	v_mov_b32_e32 v12, v1
	s_clause 0x3
	global_store_b128 v[26:27], v[0:3], off
	global_store_b128 v[26:27], v[4:7], off offset:16
	global_store_b128 v[26:27], v[8:11], off offset:32
	;; [unrolled: 1-line block ×3, first 2 shown]
	s_wait_xcnt 0x3
	v_dual_mov_b32 v3, 0x40200000 :: v_dual_mov_b32 v16, v1
	s_wait_xcnt 0x2
	v_dual_mov_b32 v5, 0x40220000 :: v_dual_mov_b32 v18, v1
	v_dual_mov_b32 v7, 0x40240000 :: v_dual_mov_b32 v20, v1
	s_wait_xcnt 0x1
	v_dual_mov_b32 v9, 0x40260000 :: v_dual_mov_b32 v22, v1
	v_dual_mov_b32 v11, 0x40280000 :: v_dual_mov_b32 v24, v1
	s_wait_xcnt 0x0
	v_mov_b32_e32 v13, 0x402a0000
	v_mov_b32_e32 v15, 0x402c0000
	;; [unrolled: 1-line block ×7, first 2 shown]
	s_clause 0x5
	global_store_b128 v[26:27], v[2:5], off offset:64
	global_store_b128 v[26:27], v[6:9], off offset:80
	;; [unrolled: 1-line block ×6, first 2 shown]
	s_wait_xcnt 0x5
	v_mov_b32_e32 v3, 0x40340000
	v_mov_b32_e32 v5, 0x40350000
	s_wait_xcnt 0x4
	v_mov_b32_e32 v7, 0x40360000
	v_mov_b32_e32 v9, 0x40370000
	;; [unrolled: 3-line block ×6, first 2 shown]
	s_clause 0x5
	global_store_b128 v[26:27], v[2:5], off offset:160
	global_store_b128 v[26:27], v[6:9], off offset:176
	;; [unrolled: 1-line block ×6, first 2 shown]
	s_endpgm
	.section	.rodata,"a",@progbits
	.p2align	6, 0x0
	.amdhsa_kernel _Z17warp_store_kernelILj256ELj32ELj32ELN6hipcub18WarpStoreAlgorithmE0EdEvPT3_
		.amdhsa_group_segment_fixed_size 0
		.amdhsa_private_segment_fixed_size 0
		.amdhsa_kernarg_size 8
		.amdhsa_user_sgpr_count 2
		.amdhsa_user_sgpr_dispatch_ptr 0
		.amdhsa_user_sgpr_queue_ptr 0
		.amdhsa_user_sgpr_kernarg_segment_ptr 1
		.amdhsa_user_sgpr_dispatch_id 0
		.amdhsa_user_sgpr_kernarg_preload_length 0
		.amdhsa_user_sgpr_kernarg_preload_offset 0
		.amdhsa_user_sgpr_private_segment_size 0
		.amdhsa_wavefront_size32 1
		.amdhsa_uses_dynamic_stack 0
		.amdhsa_enable_private_segment 0
		.amdhsa_system_sgpr_workgroup_id_x 1
		.amdhsa_system_sgpr_workgroup_id_y 0
		.amdhsa_system_sgpr_workgroup_id_z 0
		.amdhsa_system_sgpr_workgroup_info 0
		.amdhsa_system_vgpr_workitem_id 0
		.amdhsa_next_free_vgpr 28
		.amdhsa_next_free_sgpr 5
		.amdhsa_named_barrier_count 0
		.amdhsa_reserve_vcc 0
		.amdhsa_float_round_mode_32 0
		.amdhsa_float_round_mode_16_64 0
		.amdhsa_float_denorm_mode_32 3
		.amdhsa_float_denorm_mode_16_64 3
		.amdhsa_fp16_overflow 0
		.amdhsa_memory_ordered 1
		.amdhsa_forward_progress 1
		.amdhsa_inst_pref_size 6
		.amdhsa_round_robin_scheduling 0
		.amdhsa_exception_fp_ieee_invalid_op 0
		.amdhsa_exception_fp_denorm_src 0
		.amdhsa_exception_fp_ieee_div_zero 0
		.amdhsa_exception_fp_ieee_overflow 0
		.amdhsa_exception_fp_ieee_underflow 0
		.amdhsa_exception_fp_ieee_inexact 0
		.amdhsa_exception_int_div_zero 0
	.end_amdhsa_kernel
	.section	.text._Z17warp_store_kernelILj256ELj32ELj32ELN6hipcub18WarpStoreAlgorithmE0EdEvPT3_,"axG",@progbits,_Z17warp_store_kernelILj256ELj32ELj32ELN6hipcub18WarpStoreAlgorithmE0EdEvPT3_,comdat
.Lfunc_end31:
	.size	_Z17warp_store_kernelILj256ELj32ELj32ELN6hipcub18WarpStoreAlgorithmE0EdEvPT3_, .Lfunc_end31-_Z17warp_store_kernelILj256ELj32ELj32ELN6hipcub18WarpStoreAlgorithmE0EdEvPT3_
                                        ; -- End function
	.set _Z17warp_store_kernelILj256ELj32ELj32ELN6hipcub18WarpStoreAlgorithmE0EdEvPT3_.num_vgpr, 28
	.set _Z17warp_store_kernelILj256ELj32ELj32ELN6hipcub18WarpStoreAlgorithmE0EdEvPT3_.num_agpr, 0
	.set _Z17warp_store_kernelILj256ELj32ELj32ELN6hipcub18WarpStoreAlgorithmE0EdEvPT3_.numbered_sgpr, 5
	.set _Z17warp_store_kernelILj256ELj32ELj32ELN6hipcub18WarpStoreAlgorithmE0EdEvPT3_.num_named_barrier, 0
	.set _Z17warp_store_kernelILj256ELj32ELj32ELN6hipcub18WarpStoreAlgorithmE0EdEvPT3_.private_seg_size, 0
	.set _Z17warp_store_kernelILj256ELj32ELj32ELN6hipcub18WarpStoreAlgorithmE0EdEvPT3_.uses_vcc, 0
	.set _Z17warp_store_kernelILj256ELj32ELj32ELN6hipcub18WarpStoreAlgorithmE0EdEvPT3_.uses_flat_scratch, 0
	.set _Z17warp_store_kernelILj256ELj32ELj32ELN6hipcub18WarpStoreAlgorithmE0EdEvPT3_.has_dyn_sized_stack, 0
	.set _Z17warp_store_kernelILj256ELj32ELj32ELN6hipcub18WarpStoreAlgorithmE0EdEvPT3_.has_recursion, 0
	.set _Z17warp_store_kernelILj256ELj32ELj32ELN6hipcub18WarpStoreAlgorithmE0EdEvPT3_.has_indirect_call, 0
	.section	.AMDGPU.csdata,"",@progbits
; Kernel info:
; codeLenInByte = 652
; TotalNumSgprs: 5
; NumVgprs: 28
; ScratchSize: 0
; MemoryBound: 1
; FloatMode: 240
; IeeeMode: 1
; LDSByteSize: 0 bytes/workgroup (compile time only)
; SGPRBlocks: 0
; VGPRBlocks: 1
; NumSGPRsForWavesPerEU: 5
; NumVGPRsForWavesPerEU: 28
; NamedBarCnt: 0
; Occupancy: 16
; WaveLimiterHint : 1
; COMPUTE_PGM_RSRC2:SCRATCH_EN: 0
; COMPUTE_PGM_RSRC2:USER_SGPR: 2
; COMPUTE_PGM_RSRC2:TRAP_HANDLER: 0
; COMPUTE_PGM_RSRC2:TGID_X_EN: 1
; COMPUTE_PGM_RSRC2:TGID_Y_EN: 0
; COMPUTE_PGM_RSRC2:TGID_Z_EN: 0
; COMPUTE_PGM_RSRC2:TIDIG_COMP_CNT: 0
	.section	.text._Z17warp_store_kernelILj256ELj32ELj32ELN6hipcub18WarpStoreAlgorithmE1EdEvPT3_,"axG",@progbits,_Z17warp_store_kernelILj256ELj32ELj32ELN6hipcub18WarpStoreAlgorithmE1EdEvPT3_,comdat
	.protected	_Z17warp_store_kernelILj256ELj32ELj32ELN6hipcub18WarpStoreAlgorithmE1EdEvPT3_ ; -- Begin function _Z17warp_store_kernelILj256ELj32ELj32ELN6hipcub18WarpStoreAlgorithmE1EdEvPT3_
	.globl	_Z17warp_store_kernelILj256ELj32ELj32ELN6hipcub18WarpStoreAlgorithmE1EdEvPT3_
	.p2align	8
	.type	_Z17warp_store_kernelILj256ELj32ELj32ELN6hipcub18WarpStoreAlgorithmE1EdEvPT3_,@function
_Z17warp_store_kernelILj256ELj32ELj32ELN6hipcub18WarpStoreAlgorithmE1EdEvPT3_: ; @_Z17warp_store_kernelILj256ELj32ELj32ELN6hipcub18WarpStoreAlgorithmE1EdEvPT3_
; %bb.0:
	s_load_b64 s[0:1], s[0:1], 0x0
	s_bfe_u32 s2, ttmp6, 0x4000c
	s_and_b32 s3, ttmp6, 15
	s_add_co_i32 s2, s2, 1
	s_getreg_b32 s4, hwreg(HW_REG_IB_STS2, 6, 4)
	s_mul_i32 s2, ttmp9, s2
	v_dual_mov_b32 v1, 0 :: v_dual_lshlrev_b32 v0, 5, v0
	s_add_co_i32 s3, s3, s2
	s_cmp_eq_u32 s4, 0
	v_mbcnt_lo_u32_b32 v4, -1, 0
	s_cselect_b32 s2, ttmp9, s3
	v_mov_b64_e32 v[6:7], 1.0
	s_lshl_b32 s2, s2, 13
	v_mov_b64_e32 v[8:9], 0x4008000000000000
	v_and_or_b32 v0, 0x1c00, v0, s2
	v_mov_b64_e32 v[10:11], 4.0
	v_mov_b64_e32 v[12:13], 0x4014000000000000
	v_mov_b64_e32 v[14:15], 0x4018000000000000
	;; [unrolled: 1-line block ×3, first 2 shown]
	s_wait_kmcnt 0x0
	v_lshl_add_u64 v[2:3], v[0:1], 3, s[0:1]
	v_lshlrev_b32_e32 v0, 3, v4
	v_mov_b64_e32 v[4:5], 0
	s_delay_alu instid0(VALU_DEP_2)
	v_add_nc_u64_e32 v[0:1], v[2:3], v[0:1]
	v_mov_b64_e32 v[2:3], 2.0
	s_clause 0x7
	global_store_b64 v[0:1], v[4:5], off
	global_store_b64 v[0:1], v[6:7], off offset:256
	global_store_b64 v[0:1], v[2:3], off offset:512
	;; [unrolled: 1-line block ×7, first 2 shown]
	s_wait_xcnt 0x5
	v_mov_b64_e32 v[2:3], 0x4020000000000000
	v_mov_b64_e32 v[4:5], 0x4022000000000000
	;; [unrolled: 1-line block ×3, first 2 shown]
	s_wait_xcnt 0x4
	v_mov_b64_e32 v[8:9], 0x4026000000000000
	s_wait_xcnt 0x3
	v_mov_b64_e32 v[10:11], 0x4028000000000000
	s_wait_xcnt 0x2
	v_mov_b64_e32 v[12:13], 0x402a000000000000
	s_wait_xcnt 0x1
	v_mov_b64_e32 v[14:15], 0x402c000000000000
	s_wait_xcnt 0x0
	v_mov_b64_e32 v[16:17], 0x402e000000000000
	s_clause 0x7
	global_store_b64 v[0:1], v[2:3], off offset:2048
	global_store_b64 v[0:1], v[4:5], off offset:2304
	;; [unrolled: 1-line block ×8, first 2 shown]
	s_wait_xcnt 0x7
	v_mov_b64_e32 v[2:3], 0x4030000000000000
	s_wait_xcnt 0x6
	v_mov_b64_e32 v[4:5], 0x4031000000000000
	;; [unrolled: 2-line block ×8, first 2 shown]
	s_clause 0x7
	global_store_b64 v[0:1], v[2:3], off offset:4096
	global_store_b64 v[0:1], v[4:5], off offset:4352
	;; [unrolled: 1-line block ×8, first 2 shown]
	s_wait_xcnt 0x7
	v_mov_b64_e32 v[2:3], 0x4038000000000000
	s_wait_xcnt 0x6
	v_mov_b64_e32 v[4:5], 0x4039000000000000
	;; [unrolled: 2-line block ×8, first 2 shown]
	s_clause 0x7
	global_store_b64 v[0:1], v[2:3], off offset:6144
	global_store_b64 v[0:1], v[4:5], off offset:6400
	;; [unrolled: 1-line block ×8, first 2 shown]
	s_endpgm
	.section	.rodata,"a",@progbits
	.p2align	6, 0x0
	.amdhsa_kernel _Z17warp_store_kernelILj256ELj32ELj32ELN6hipcub18WarpStoreAlgorithmE1EdEvPT3_
		.amdhsa_group_segment_fixed_size 0
		.amdhsa_private_segment_fixed_size 0
		.amdhsa_kernarg_size 8
		.amdhsa_user_sgpr_count 2
		.amdhsa_user_sgpr_dispatch_ptr 0
		.amdhsa_user_sgpr_queue_ptr 0
		.amdhsa_user_sgpr_kernarg_segment_ptr 1
		.amdhsa_user_sgpr_dispatch_id 0
		.amdhsa_user_sgpr_kernarg_preload_length 0
		.amdhsa_user_sgpr_kernarg_preload_offset 0
		.amdhsa_user_sgpr_private_segment_size 0
		.amdhsa_wavefront_size32 1
		.amdhsa_uses_dynamic_stack 0
		.amdhsa_enable_private_segment 0
		.amdhsa_system_sgpr_workgroup_id_x 1
		.amdhsa_system_sgpr_workgroup_id_y 0
		.amdhsa_system_sgpr_workgroup_id_z 0
		.amdhsa_system_sgpr_workgroup_info 0
		.amdhsa_system_vgpr_workitem_id 0
		.amdhsa_next_free_vgpr 18
		.amdhsa_next_free_sgpr 5
		.amdhsa_named_barrier_count 0
		.amdhsa_reserve_vcc 0
		.amdhsa_float_round_mode_32 0
		.amdhsa_float_round_mode_16_64 0
		.amdhsa_float_denorm_mode_32 3
		.amdhsa_float_denorm_mode_16_64 3
		.amdhsa_fp16_overflow 0
		.amdhsa_memory_ordered 1
		.amdhsa_forward_progress 1
		.amdhsa_inst_pref_size 8
		.amdhsa_round_robin_scheduling 0
		.amdhsa_exception_fp_ieee_invalid_op 0
		.amdhsa_exception_fp_denorm_src 0
		.amdhsa_exception_fp_ieee_div_zero 0
		.amdhsa_exception_fp_ieee_overflow 0
		.amdhsa_exception_fp_ieee_underflow 0
		.amdhsa_exception_fp_ieee_inexact 0
		.amdhsa_exception_int_div_zero 0
	.end_amdhsa_kernel
	.section	.text._Z17warp_store_kernelILj256ELj32ELj32ELN6hipcub18WarpStoreAlgorithmE1EdEvPT3_,"axG",@progbits,_Z17warp_store_kernelILj256ELj32ELj32ELN6hipcub18WarpStoreAlgorithmE1EdEvPT3_,comdat
.Lfunc_end32:
	.size	_Z17warp_store_kernelILj256ELj32ELj32ELN6hipcub18WarpStoreAlgorithmE1EdEvPT3_, .Lfunc_end32-_Z17warp_store_kernelILj256ELj32ELj32ELN6hipcub18WarpStoreAlgorithmE1EdEvPT3_
                                        ; -- End function
	.set _Z17warp_store_kernelILj256ELj32ELj32ELN6hipcub18WarpStoreAlgorithmE1EdEvPT3_.num_vgpr, 18
	.set _Z17warp_store_kernelILj256ELj32ELj32ELN6hipcub18WarpStoreAlgorithmE1EdEvPT3_.num_agpr, 0
	.set _Z17warp_store_kernelILj256ELj32ELj32ELN6hipcub18WarpStoreAlgorithmE1EdEvPT3_.numbered_sgpr, 5
	.set _Z17warp_store_kernelILj256ELj32ELj32ELN6hipcub18WarpStoreAlgorithmE1EdEvPT3_.num_named_barrier, 0
	.set _Z17warp_store_kernelILj256ELj32ELj32ELN6hipcub18WarpStoreAlgorithmE1EdEvPT3_.private_seg_size, 0
	.set _Z17warp_store_kernelILj256ELj32ELj32ELN6hipcub18WarpStoreAlgorithmE1EdEvPT3_.uses_vcc, 0
	.set _Z17warp_store_kernelILj256ELj32ELj32ELN6hipcub18WarpStoreAlgorithmE1EdEvPT3_.uses_flat_scratch, 0
	.set _Z17warp_store_kernelILj256ELj32ELj32ELN6hipcub18WarpStoreAlgorithmE1EdEvPT3_.has_dyn_sized_stack, 0
	.set _Z17warp_store_kernelILj256ELj32ELj32ELN6hipcub18WarpStoreAlgorithmE1EdEvPT3_.has_recursion, 0
	.set _Z17warp_store_kernelILj256ELj32ELj32ELN6hipcub18WarpStoreAlgorithmE1EdEvPT3_.has_indirect_call, 0
	.section	.AMDGPU.csdata,"",@progbits
; Kernel info:
; codeLenInByte = 944
; TotalNumSgprs: 5
; NumVgprs: 18
; ScratchSize: 0
; MemoryBound: 1
; FloatMode: 240
; IeeeMode: 1
; LDSByteSize: 0 bytes/workgroup (compile time only)
; SGPRBlocks: 0
; VGPRBlocks: 1
; NumSGPRsForWavesPerEU: 5
; NumVGPRsForWavesPerEU: 18
; NamedBarCnt: 0
; Occupancy: 16
; WaveLimiterHint : 1
; COMPUTE_PGM_RSRC2:SCRATCH_EN: 0
; COMPUTE_PGM_RSRC2:USER_SGPR: 2
; COMPUTE_PGM_RSRC2:TRAP_HANDLER: 0
; COMPUTE_PGM_RSRC2:TGID_X_EN: 1
; COMPUTE_PGM_RSRC2:TGID_Y_EN: 0
; COMPUTE_PGM_RSRC2:TGID_Z_EN: 0
; COMPUTE_PGM_RSRC2:TIDIG_COMP_CNT: 0
	.section	.text._Z17warp_store_kernelILj256ELj32ELj32ELN6hipcub18WarpStoreAlgorithmE2EdEvPT3_,"axG",@progbits,_Z17warp_store_kernelILj256ELj32ELj32ELN6hipcub18WarpStoreAlgorithmE2EdEvPT3_,comdat
	.protected	_Z17warp_store_kernelILj256ELj32ELj32ELN6hipcub18WarpStoreAlgorithmE2EdEvPT3_ ; -- Begin function _Z17warp_store_kernelILj256ELj32ELj32ELN6hipcub18WarpStoreAlgorithmE2EdEvPT3_
	.globl	_Z17warp_store_kernelILj256ELj32ELj32ELN6hipcub18WarpStoreAlgorithmE2EdEvPT3_
	.p2align	8
	.type	_Z17warp_store_kernelILj256ELj32ELj32ELN6hipcub18WarpStoreAlgorithmE2EdEvPT3_,@function
_Z17warp_store_kernelILj256ELj32ELj32ELN6hipcub18WarpStoreAlgorithmE2EdEvPT3_: ; @_Z17warp_store_kernelILj256ELj32ELj32ELN6hipcub18WarpStoreAlgorithmE2EdEvPT3_
; %bb.0:
	s_load_b64 s[0:1], s[0:1], 0x0
	s_bfe_u32 s2, ttmp6, 0x4000c
	s_and_b32 s3, ttmp6, 15
	s_add_co_i32 s2, s2, 1
	s_getreg_b32 s4, hwreg(HW_REG_IB_STS2, 6, 4)
	s_mul_i32 s2, ttmp9, s2
	v_dual_mov_b32 v1, 0 :: v_dual_lshlrev_b32 v0, 5, v0
	s_add_co_i32 s3, s3, s2
	s_cmp_eq_u32 s4, 0
	v_mbcnt_lo_u32_b32 v2, -1, 0
	s_cselect_b32 s2, ttmp9, s3
	v_mov_b32_e32 v3, 0x3ff00000
	s_lshl_b32 s2, s2, 13
	v_mov_b32_e32 v5, 2.0
	v_and_or_b32 v0, 0x1c00, v0, s2
	v_mov_b32_e32 v11, 0x40140000
	v_dual_mov_b32 v7, 0x40080000 :: v_dual_mov_b32 v4, v1
	v_dual_mov_b32 v9, 0x40100000 :: v_dual_mov_b32 v6, v1
	s_wait_kmcnt 0x0
	v_lshl_add_u64 v[12:13], v[0:1], 3, s[0:1]
	v_dual_lshlrev_b32 v0, 8, v2 :: v_dual_mov_b32 v2, v1
	v_dual_mov_b32 v8, v1 :: v_dual_mov_b32 v10, v1
	v_dual_mov_b32 v15, 0x401c0000 :: v_dual_mov_b32 v14, v1
	s_delay_alu instid0(VALU_DEP_3)
	v_add_nc_u64_e32 v[26:27], v[12:13], v[0:1]
	v_dual_mov_b32 v0, v1 :: v_dual_mov_b32 v13, 0x40180000
	v_mov_b32_e32 v12, v1
	s_clause 0x3
	global_store_b128 v[26:27], v[0:3], off
	global_store_b128 v[26:27], v[4:7], off offset:16
	global_store_b128 v[26:27], v[8:11], off offset:32
	;; [unrolled: 1-line block ×3, first 2 shown]
	s_wait_xcnt 0x3
	v_dual_mov_b32 v3, 0x40200000 :: v_dual_mov_b32 v16, v1
	s_wait_xcnt 0x2
	v_dual_mov_b32 v5, 0x40220000 :: v_dual_mov_b32 v18, v1
	v_dual_mov_b32 v7, 0x40240000 :: v_dual_mov_b32 v20, v1
	s_wait_xcnt 0x1
	v_dual_mov_b32 v9, 0x40260000 :: v_dual_mov_b32 v22, v1
	v_dual_mov_b32 v11, 0x40280000 :: v_dual_mov_b32 v24, v1
	s_wait_xcnt 0x0
	v_mov_b32_e32 v13, 0x402a0000
	v_mov_b32_e32 v15, 0x402c0000
	;; [unrolled: 1-line block ×7, first 2 shown]
	s_clause 0x5
	global_store_b128 v[26:27], v[2:5], off offset:64
	global_store_b128 v[26:27], v[6:9], off offset:80
	;; [unrolled: 1-line block ×6, first 2 shown]
	s_wait_xcnt 0x5
	v_mov_b32_e32 v3, 0x40340000
	v_mov_b32_e32 v5, 0x40350000
	s_wait_xcnt 0x4
	v_mov_b32_e32 v7, 0x40360000
	v_mov_b32_e32 v9, 0x40370000
	s_wait_xcnt 0x3
	v_mov_b32_e32 v11, 0x40380000
	v_mov_b32_e32 v13, 0x40390000
	s_wait_xcnt 0x2
	v_mov_b32_e32 v15, 0x403a0000
	v_mov_b32_e32 v17, 0x403b0000
	s_wait_xcnt 0x1
	v_mov_b32_e32 v19, 0x403c0000
	v_mov_b32_e32 v21, 0x403d0000
	s_wait_xcnt 0x0
	v_mov_b32_e32 v23, 0x403e0000
	v_mov_b32_e32 v25, 0x403f0000
	s_clause 0x5
	global_store_b128 v[26:27], v[2:5], off offset:160
	global_store_b128 v[26:27], v[6:9], off offset:176
	;; [unrolled: 1-line block ×6, first 2 shown]
	s_endpgm
	.section	.rodata,"a",@progbits
	.p2align	6, 0x0
	.amdhsa_kernel _Z17warp_store_kernelILj256ELj32ELj32ELN6hipcub18WarpStoreAlgorithmE2EdEvPT3_
		.amdhsa_group_segment_fixed_size 0
		.amdhsa_private_segment_fixed_size 0
		.amdhsa_kernarg_size 8
		.amdhsa_user_sgpr_count 2
		.amdhsa_user_sgpr_dispatch_ptr 0
		.amdhsa_user_sgpr_queue_ptr 0
		.amdhsa_user_sgpr_kernarg_segment_ptr 1
		.amdhsa_user_sgpr_dispatch_id 0
		.amdhsa_user_sgpr_kernarg_preload_length 0
		.amdhsa_user_sgpr_kernarg_preload_offset 0
		.amdhsa_user_sgpr_private_segment_size 0
		.amdhsa_wavefront_size32 1
		.amdhsa_uses_dynamic_stack 0
		.amdhsa_enable_private_segment 0
		.amdhsa_system_sgpr_workgroup_id_x 1
		.amdhsa_system_sgpr_workgroup_id_y 0
		.amdhsa_system_sgpr_workgroup_id_z 0
		.amdhsa_system_sgpr_workgroup_info 0
		.amdhsa_system_vgpr_workitem_id 0
		.amdhsa_next_free_vgpr 28
		.amdhsa_next_free_sgpr 5
		.amdhsa_named_barrier_count 0
		.amdhsa_reserve_vcc 0
		.amdhsa_float_round_mode_32 0
		.amdhsa_float_round_mode_16_64 0
		.amdhsa_float_denorm_mode_32 3
		.amdhsa_float_denorm_mode_16_64 3
		.amdhsa_fp16_overflow 0
		.amdhsa_memory_ordered 1
		.amdhsa_forward_progress 1
		.amdhsa_inst_pref_size 6
		.amdhsa_round_robin_scheduling 0
		.amdhsa_exception_fp_ieee_invalid_op 0
		.amdhsa_exception_fp_denorm_src 0
		.amdhsa_exception_fp_ieee_div_zero 0
		.amdhsa_exception_fp_ieee_overflow 0
		.amdhsa_exception_fp_ieee_underflow 0
		.amdhsa_exception_fp_ieee_inexact 0
		.amdhsa_exception_int_div_zero 0
	.end_amdhsa_kernel
	.section	.text._Z17warp_store_kernelILj256ELj32ELj32ELN6hipcub18WarpStoreAlgorithmE2EdEvPT3_,"axG",@progbits,_Z17warp_store_kernelILj256ELj32ELj32ELN6hipcub18WarpStoreAlgorithmE2EdEvPT3_,comdat
.Lfunc_end33:
	.size	_Z17warp_store_kernelILj256ELj32ELj32ELN6hipcub18WarpStoreAlgorithmE2EdEvPT3_, .Lfunc_end33-_Z17warp_store_kernelILj256ELj32ELj32ELN6hipcub18WarpStoreAlgorithmE2EdEvPT3_
                                        ; -- End function
	.set _Z17warp_store_kernelILj256ELj32ELj32ELN6hipcub18WarpStoreAlgorithmE2EdEvPT3_.num_vgpr, 28
	.set _Z17warp_store_kernelILj256ELj32ELj32ELN6hipcub18WarpStoreAlgorithmE2EdEvPT3_.num_agpr, 0
	.set _Z17warp_store_kernelILj256ELj32ELj32ELN6hipcub18WarpStoreAlgorithmE2EdEvPT3_.numbered_sgpr, 5
	.set _Z17warp_store_kernelILj256ELj32ELj32ELN6hipcub18WarpStoreAlgorithmE2EdEvPT3_.num_named_barrier, 0
	.set _Z17warp_store_kernelILj256ELj32ELj32ELN6hipcub18WarpStoreAlgorithmE2EdEvPT3_.private_seg_size, 0
	.set _Z17warp_store_kernelILj256ELj32ELj32ELN6hipcub18WarpStoreAlgorithmE2EdEvPT3_.uses_vcc, 0
	.set _Z17warp_store_kernelILj256ELj32ELj32ELN6hipcub18WarpStoreAlgorithmE2EdEvPT3_.uses_flat_scratch, 0
	.set _Z17warp_store_kernelILj256ELj32ELj32ELN6hipcub18WarpStoreAlgorithmE2EdEvPT3_.has_dyn_sized_stack, 0
	.set _Z17warp_store_kernelILj256ELj32ELj32ELN6hipcub18WarpStoreAlgorithmE2EdEvPT3_.has_recursion, 0
	.set _Z17warp_store_kernelILj256ELj32ELj32ELN6hipcub18WarpStoreAlgorithmE2EdEvPT3_.has_indirect_call, 0
	.section	.AMDGPU.csdata,"",@progbits
; Kernel info:
; codeLenInByte = 652
; TotalNumSgprs: 5
; NumVgprs: 28
; ScratchSize: 0
; MemoryBound: 1
; FloatMode: 240
; IeeeMode: 1
; LDSByteSize: 0 bytes/workgroup (compile time only)
; SGPRBlocks: 0
; VGPRBlocks: 1
; NumSGPRsForWavesPerEU: 5
; NumVGPRsForWavesPerEU: 28
; NamedBarCnt: 0
; Occupancy: 16
; WaveLimiterHint : 1
; COMPUTE_PGM_RSRC2:SCRATCH_EN: 0
; COMPUTE_PGM_RSRC2:USER_SGPR: 2
; COMPUTE_PGM_RSRC2:TRAP_HANDLER: 0
; COMPUTE_PGM_RSRC2:TGID_X_EN: 1
; COMPUTE_PGM_RSRC2:TGID_Y_EN: 0
; COMPUTE_PGM_RSRC2:TGID_Z_EN: 0
; COMPUTE_PGM_RSRC2:TIDIG_COMP_CNT: 0
	.section	.text._Z17warp_store_kernelILj256ELj64ELj32ELN6hipcub18WarpStoreAlgorithmE0EdEvPT3_,"axG",@progbits,_Z17warp_store_kernelILj256ELj64ELj32ELN6hipcub18WarpStoreAlgorithmE0EdEvPT3_,comdat
	.protected	_Z17warp_store_kernelILj256ELj64ELj32ELN6hipcub18WarpStoreAlgorithmE0EdEvPT3_ ; -- Begin function _Z17warp_store_kernelILj256ELj64ELj32ELN6hipcub18WarpStoreAlgorithmE0EdEvPT3_
	.globl	_Z17warp_store_kernelILj256ELj64ELj32ELN6hipcub18WarpStoreAlgorithmE0EdEvPT3_
	.p2align	8
	.type	_Z17warp_store_kernelILj256ELj64ELj32ELN6hipcub18WarpStoreAlgorithmE0EdEvPT3_,@function
_Z17warp_store_kernelILj256ELj64ELj32ELN6hipcub18WarpStoreAlgorithmE0EdEvPT3_: ; @_Z17warp_store_kernelILj256ELj64ELj32ELN6hipcub18WarpStoreAlgorithmE0EdEvPT3_
; %bb.0:
	s_load_b64 s[0:1], s[0:1], 0x0
	s_bfe_u32 s2, ttmp6, 0x4000c
	s_and_b32 s3, ttmp6, 15
	s_add_co_i32 s2, s2, 1
	s_getreg_b32 s4, hwreg(HW_REG_IB_STS2, 6, 4)
	s_mul_i32 s2, ttmp9, s2
	v_dual_mov_b32 v1, 0 :: v_dual_lshlrev_b32 v0, 6, v0
	s_add_co_i32 s3, s3, s2
	s_cmp_eq_u32 s4, 0
	v_mbcnt_lo_u32_b32 v2, -1, 0
	s_cselect_b32 s2, ttmp9, s3
	v_mov_b32_e32 v3, 0x3ff00000
	s_lshl_b32 s2, s2, 14
	v_mov_b32_e32 v5, 2.0
	v_and_or_b32 v0, 0x3800, v0, s2
	v_mov_b32_e32 v9, 0x40100000
	v_dual_mov_b32 v7, 0x40080000 :: v_dual_mov_b32 v4, v1
	v_dual_mov_b32 v11, 0x40140000 :: v_dual_mov_b32 v6, v1
	s_wait_kmcnt 0x0
	v_lshl_add_u64 v[16:17], v[0:1], 3, s[0:1]
	v_dual_lshlrev_b32 v0, 9, v2 :: v_dual_mov_b32 v2, v1
	v_dual_mov_b32 v13, 0x40180000 :: v_dual_mov_b32 v8, v1
	v_dual_mov_b32 v15, 0x401c0000 :: v_dual_mov_b32 v10, v1
	s_delay_alu instid0(VALU_DEP_3)
	v_add_nc_u64_e32 v[28:29], v[16:17], v[0:1]
	v_dual_mov_b32 v0, v1 :: v_dual_mov_b32 v12, v1
	v_mov_b32_e32 v14, v1
	s_clause 0x1
	global_store_b128 v[28:29], v[0:3], off
	global_store_b128 v[28:29], v[4:7], off offset:16
	s_wait_xcnt 0x1
	v_dual_mov_b32 v3, 0x40200000 :: v_dual_mov_b32 v16, v1
	s_wait_xcnt 0x0
	v_dual_mov_b32 v5, 0x40220000 :: v_dual_mov_b32 v18, v1
	v_dual_mov_b32 v17, 0x40240000 :: v_dual_mov_b32 v20, v1
	;; [unrolled: 1-line block ×5, first 2 shown]
	v_mov_b32_e32 v25, 0x402c0000
	v_mov_b32_e32 v27, 0x402e0000
	s_clause 0x5
	global_store_b128 v[28:29], v[8:11], off offset:32
	global_store_b128 v[28:29], v[12:15], off offset:48
	;; [unrolled: 1-line block ×6, first 2 shown]
	s_wait_xcnt 0x3
	v_mov_b32_e32 v3, 0x40300000
	v_mov_b32_e32 v5, 0x40310000
	;; [unrolled: 1-line block ×7, first 2 shown]
	s_wait_xcnt 0x2
	v_mov_b32_e32 v17, 0x40370000
	v_mov_b32_e32 v19, 0x40380000
	s_wait_xcnt 0x1
	v_mov_b32_e32 v21, 0x40390000
	v_mov_b32_e32 v23, 0x403a0000
	s_wait_xcnt 0x0
	v_mov_b32_e32 v25, 0x403b0000
	s_clause 0x5
	global_store_b128 v[28:29], v[2:5], off offset:128
	global_store_b128 v[28:29], v[6:9], off offset:144
	global_store_b128 v[28:29], v[10:13], off offset:160
	global_store_b128 v[28:29], v[14:17], off offset:176
	global_store_b128 v[28:29], v[18:21], off offset:192
	global_store_b128 v[28:29], v[22:25], off offset:208
	s_wait_xcnt 0x5
	v_mov_b32_e32 v3, 0x403c0000
	v_mov_b32_e32 v5, 0x403d0000
	s_wait_xcnt 0x4
	v_mov_b32_e32 v7, 0x403e0000
	v_mov_b32_e32 v9, 0x403f0000
	s_wait_xcnt 0x3
	v_mov_b32_e32 v11, 0x40400000
	v_mov_b32_e32 v13, 0x40408000
	s_wait_xcnt 0x2
	v_mov_b32_e32 v15, 0x40410000
	v_mov_b32_e32 v17, 0x40418000
	s_wait_xcnt 0x1
	v_mov_b32_e32 v19, 0x40420000
	v_mov_b32_e32 v21, 0x40428000
	s_wait_xcnt 0x0
	v_mov_b32_e32 v23, 0x40430000
	v_mov_b32_e32 v25, 0x40438000
	s_clause 0x5
	global_store_b128 v[28:29], v[2:5], off offset:224
	global_store_b128 v[28:29], v[6:9], off offset:240
	global_store_b128 v[28:29], v[10:13], off offset:256
	global_store_b128 v[28:29], v[14:17], off offset:272
	global_store_b128 v[28:29], v[18:21], off offset:288
	global_store_b128 v[28:29], v[22:25], off offset:304
	s_wait_xcnt 0x5
	v_mov_b32_e32 v3, 0x40440000
	v_mov_b32_e32 v5, 0x40448000
	s_wait_xcnt 0x4
	v_mov_b32_e32 v7, 0x40450000
	v_mov_b32_e32 v9, 0x40458000
	s_wait_xcnt 0x3
	v_mov_b32_e32 v11, 0x40460000
	v_mov_b32_e32 v13, 0x40468000
	s_wait_xcnt 0x2
	v_mov_b32_e32 v15, 0x40470000
	v_mov_b32_e32 v17, 0x40478000
	s_wait_xcnt 0x1
	v_mov_b32_e32 v19, 0x40480000
	v_mov_b32_e32 v21, 0x40488000
	s_wait_xcnt 0x0
	v_mov_b32_e32 v23, 0x40490000
	;; [unrolled: 25-line block ×3, first 2 shown]
	v_mov_b32_e32 v25, 0x404f8000
	s_clause 0x5
	global_store_b128 v[28:29], v[2:5], off offset:416
	global_store_b128 v[28:29], v[6:9], off offset:432
	global_store_b128 v[28:29], v[10:13], off offset:448
	global_store_b128 v[28:29], v[14:17], off offset:464
	global_store_b128 v[28:29], v[18:21], off offset:480
	global_store_b128 v[28:29], v[22:25], off offset:496
	s_endpgm
	.section	.rodata,"a",@progbits
	.p2align	6, 0x0
	.amdhsa_kernel _Z17warp_store_kernelILj256ELj64ELj32ELN6hipcub18WarpStoreAlgorithmE0EdEvPT3_
		.amdhsa_group_segment_fixed_size 0
		.amdhsa_private_segment_fixed_size 0
		.amdhsa_kernarg_size 8
		.amdhsa_user_sgpr_count 2
		.amdhsa_user_sgpr_dispatch_ptr 0
		.amdhsa_user_sgpr_queue_ptr 0
		.amdhsa_user_sgpr_kernarg_segment_ptr 1
		.amdhsa_user_sgpr_dispatch_id 0
		.amdhsa_user_sgpr_kernarg_preload_length 0
		.amdhsa_user_sgpr_kernarg_preload_offset 0
		.amdhsa_user_sgpr_private_segment_size 0
		.amdhsa_wavefront_size32 1
		.amdhsa_uses_dynamic_stack 0
		.amdhsa_enable_private_segment 0
		.amdhsa_system_sgpr_workgroup_id_x 1
		.amdhsa_system_sgpr_workgroup_id_y 0
		.amdhsa_system_sgpr_workgroup_id_z 0
		.amdhsa_system_sgpr_workgroup_info 0
		.amdhsa_system_vgpr_workitem_id 0
		.amdhsa_next_free_vgpr 30
		.amdhsa_next_free_sgpr 5
		.amdhsa_named_barrier_count 0
		.amdhsa_reserve_vcc 0
		.amdhsa_float_round_mode_32 0
		.amdhsa_float_round_mode_16_64 0
		.amdhsa_float_denorm_mode_32 3
		.amdhsa_float_denorm_mode_16_64 3
		.amdhsa_fp16_overflow 0
		.amdhsa_memory_ordered 1
		.amdhsa_forward_progress 1
		.amdhsa_inst_pref_size 10
		.amdhsa_round_robin_scheduling 0
		.amdhsa_exception_fp_ieee_invalid_op 0
		.amdhsa_exception_fp_denorm_src 0
		.amdhsa_exception_fp_ieee_div_zero 0
		.amdhsa_exception_fp_ieee_overflow 0
		.amdhsa_exception_fp_ieee_underflow 0
		.amdhsa_exception_fp_ieee_inexact 0
		.amdhsa_exception_int_div_zero 0
	.end_amdhsa_kernel
	.section	.text._Z17warp_store_kernelILj256ELj64ELj32ELN6hipcub18WarpStoreAlgorithmE0EdEvPT3_,"axG",@progbits,_Z17warp_store_kernelILj256ELj64ELj32ELN6hipcub18WarpStoreAlgorithmE0EdEvPT3_,comdat
.Lfunc_end34:
	.size	_Z17warp_store_kernelILj256ELj64ELj32ELN6hipcub18WarpStoreAlgorithmE0EdEvPT3_, .Lfunc_end34-_Z17warp_store_kernelILj256ELj64ELj32ELN6hipcub18WarpStoreAlgorithmE0EdEvPT3_
                                        ; -- End function
	.set _Z17warp_store_kernelILj256ELj64ELj32ELN6hipcub18WarpStoreAlgorithmE0EdEvPT3_.num_vgpr, 30
	.set _Z17warp_store_kernelILj256ELj64ELj32ELN6hipcub18WarpStoreAlgorithmE0EdEvPT3_.num_agpr, 0
	.set _Z17warp_store_kernelILj256ELj64ELj32ELN6hipcub18WarpStoreAlgorithmE0EdEvPT3_.numbered_sgpr, 5
	.set _Z17warp_store_kernelILj256ELj64ELj32ELN6hipcub18WarpStoreAlgorithmE0EdEvPT3_.num_named_barrier, 0
	.set _Z17warp_store_kernelILj256ELj64ELj32ELN6hipcub18WarpStoreAlgorithmE0EdEvPT3_.private_seg_size, 0
	.set _Z17warp_store_kernelILj256ELj64ELj32ELN6hipcub18WarpStoreAlgorithmE0EdEvPT3_.uses_vcc, 0
	.set _Z17warp_store_kernelILj256ELj64ELj32ELN6hipcub18WarpStoreAlgorithmE0EdEvPT3_.uses_flat_scratch, 0
	.set _Z17warp_store_kernelILj256ELj64ELj32ELN6hipcub18WarpStoreAlgorithmE0EdEvPT3_.has_dyn_sized_stack, 0
	.set _Z17warp_store_kernelILj256ELj64ELj32ELN6hipcub18WarpStoreAlgorithmE0EdEvPT3_.has_recursion, 0
	.set _Z17warp_store_kernelILj256ELj64ELj32ELN6hipcub18WarpStoreAlgorithmE0EdEvPT3_.has_indirect_call, 0
	.section	.AMDGPU.csdata,"",@progbits
; Kernel info:
; codeLenInByte = 1172
; TotalNumSgprs: 5
; NumVgprs: 30
; ScratchSize: 0
; MemoryBound: 1
; FloatMode: 240
; IeeeMode: 1
; LDSByteSize: 0 bytes/workgroup (compile time only)
; SGPRBlocks: 0
; VGPRBlocks: 1
; NumSGPRsForWavesPerEU: 5
; NumVGPRsForWavesPerEU: 30
; NamedBarCnt: 0
; Occupancy: 16
; WaveLimiterHint : 1
; COMPUTE_PGM_RSRC2:SCRATCH_EN: 0
; COMPUTE_PGM_RSRC2:USER_SGPR: 2
; COMPUTE_PGM_RSRC2:TRAP_HANDLER: 0
; COMPUTE_PGM_RSRC2:TGID_X_EN: 1
; COMPUTE_PGM_RSRC2:TGID_Y_EN: 0
; COMPUTE_PGM_RSRC2:TGID_Z_EN: 0
; COMPUTE_PGM_RSRC2:TIDIG_COMP_CNT: 0
	.section	.text._Z17warp_store_kernelILj256ELj64ELj32ELN6hipcub18WarpStoreAlgorithmE1EdEvPT3_,"axG",@progbits,_Z17warp_store_kernelILj256ELj64ELj32ELN6hipcub18WarpStoreAlgorithmE1EdEvPT3_,comdat
	.protected	_Z17warp_store_kernelILj256ELj64ELj32ELN6hipcub18WarpStoreAlgorithmE1EdEvPT3_ ; -- Begin function _Z17warp_store_kernelILj256ELj64ELj32ELN6hipcub18WarpStoreAlgorithmE1EdEvPT3_
	.globl	_Z17warp_store_kernelILj256ELj64ELj32ELN6hipcub18WarpStoreAlgorithmE1EdEvPT3_
	.p2align	8
	.type	_Z17warp_store_kernelILj256ELj64ELj32ELN6hipcub18WarpStoreAlgorithmE1EdEvPT3_,@function
_Z17warp_store_kernelILj256ELj64ELj32ELN6hipcub18WarpStoreAlgorithmE1EdEvPT3_: ; @_Z17warp_store_kernelILj256ELj64ELj32ELN6hipcub18WarpStoreAlgorithmE1EdEvPT3_
; %bb.0:
	s_load_b64 s[0:1], s[0:1], 0x0
	s_bfe_u32 s2, ttmp6, 0x4000c
	s_and_b32 s3, ttmp6, 15
	s_add_co_i32 s2, s2, 1
	s_getreg_b32 s4, hwreg(HW_REG_IB_STS2, 6, 4)
	s_mul_i32 s2, ttmp9, s2
	v_dual_mov_b32 v1, 0 :: v_dual_lshlrev_b32 v0, 6, v0
	s_add_co_i32 s3, s3, s2
	s_cmp_eq_u32 s4, 0
	v_mbcnt_lo_u32_b32 v4, -1, 0
	s_cselect_b32 s2, ttmp9, s3
	v_mov_b64_e32 v[6:7], 1.0
	s_lshl_b32 s2, s2, 14
	v_mov_b64_e32 v[8:9], 0x4008000000000000
	v_and_or_b32 v0, 0x3800, v0, s2
	v_mov_b64_e32 v[10:11], 4.0
	v_mov_b64_e32 v[12:13], 0x4014000000000000
	v_mov_b64_e32 v[14:15], 0x4018000000000000
	;; [unrolled: 1-line block ×3, first 2 shown]
	s_wait_kmcnt 0x0
	v_lshl_add_u64 v[2:3], v[0:1], 3, s[0:1]
	v_lshlrev_b32_e32 v0, 3, v4
	v_mov_b64_e32 v[4:5], 0
	s_delay_alu instid0(VALU_DEP_2)
	v_add_nc_u64_e32 v[0:1], v[2:3], v[0:1]
	v_mov_b64_e32 v[2:3], 2.0
	s_clause 0x7
	global_store_b64 v[0:1], v[4:5], off
	global_store_b64 v[0:1], v[6:7], off offset:256
	global_store_b64 v[0:1], v[2:3], off offset:512
	;; [unrolled: 1-line block ×7, first 2 shown]
	s_wait_xcnt 0x5
	v_mov_b64_e32 v[2:3], 0x4020000000000000
	v_mov_b64_e32 v[4:5], 0x4022000000000000
	;; [unrolled: 1-line block ×3, first 2 shown]
	s_wait_xcnt 0x4
	v_mov_b64_e32 v[8:9], 0x4026000000000000
	s_wait_xcnt 0x3
	v_mov_b64_e32 v[10:11], 0x4028000000000000
	s_wait_xcnt 0x2
	v_mov_b64_e32 v[12:13], 0x402a000000000000
	s_wait_xcnt 0x1
	v_mov_b64_e32 v[14:15], 0x402c000000000000
	s_wait_xcnt 0x0
	v_mov_b64_e32 v[16:17], 0x402e000000000000
	s_clause 0x7
	global_store_b64 v[0:1], v[2:3], off offset:2048
	global_store_b64 v[0:1], v[4:5], off offset:2304
	global_store_b64 v[0:1], v[6:7], off offset:2560
	global_store_b64 v[0:1], v[8:9], off offset:2816
	global_store_b64 v[0:1], v[10:11], off offset:3072
	global_store_b64 v[0:1], v[12:13], off offset:3328
	global_store_b64 v[0:1], v[14:15], off offset:3584
	global_store_b64 v[0:1], v[16:17], off offset:3840
	s_wait_xcnt 0x7
	v_mov_b64_e32 v[2:3], 0x4030000000000000
	s_wait_xcnt 0x6
	v_mov_b64_e32 v[4:5], 0x4031000000000000
	s_wait_xcnt 0x5
	v_mov_b64_e32 v[6:7], 0x4032000000000000
	s_wait_xcnt 0x4
	v_mov_b64_e32 v[8:9], 0x4033000000000000
	s_wait_xcnt 0x3
	v_mov_b64_e32 v[10:11], 0x4034000000000000
	s_wait_xcnt 0x2
	v_mov_b64_e32 v[12:13], 0x4035000000000000
	s_wait_xcnt 0x1
	v_mov_b64_e32 v[14:15], 0x4036000000000000
	s_wait_xcnt 0x0
	v_mov_b64_e32 v[16:17], 0x4037000000000000
	s_clause 0x7
	global_store_b64 v[0:1], v[2:3], off offset:4096
	global_store_b64 v[0:1], v[4:5], off offset:4352
	global_store_b64 v[0:1], v[6:7], off offset:4608
	global_store_b64 v[0:1], v[8:9], off offset:4864
	global_store_b64 v[0:1], v[10:11], off offset:5120
	global_store_b64 v[0:1], v[12:13], off offset:5376
	global_store_b64 v[0:1], v[14:15], off offset:5632
	global_store_b64 v[0:1], v[16:17], off offset:5888
	s_wait_xcnt 0x7
	v_mov_b64_e32 v[2:3], 0x4038000000000000
	s_wait_xcnt 0x6
	v_mov_b64_e32 v[4:5], 0x4039000000000000
	s_wait_xcnt 0x5
	v_mov_b64_e32 v[6:7], 0x403a000000000000
	;; [unrolled: 25-line block ×6, first 2 shown]
	s_wait_xcnt 0x4
	v_mov_b64_e32 v[8:9], 0x404d800000000000
	s_wait_xcnt 0x3
	v_mov_b64_e32 v[10:11], 0x404e000000000000
	s_wait_xcnt 0x2
	v_mov_b64_e32 v[12:13], 0x404e800000000000
	s_wait_xcnt 0x1
	v_mov_b64_e32 v[14:15], 0x404f000000000000
	s_wait_xcnt 0x0
	v_mov_b64_e32 v[16:17], 0x404f800000000000
	s_clause 0x7
	global_store_b64 v[0:1], v[2:3], off offset:14336
	global_store_b64 v[0:1], v[4:5], off offset:14592
	;; [unrolled: 1-line block ×8, first 2 shown]
	s_endpgm
	.section	.rodata,"a",@progbits
	.p2align	6, 0x0
	.amdhsa_kernel _Z17warp_store_kernelILj256ELj64ELj32ELN6hipcub18WarpStoreAlgorithmE1EdEvPT3_
		.amdhsa_group_segment_fixed_size 0
		.amdhsa_private_segment_fixed_size 0
		.amdhsa_kernarg_size 8
		.amdhsa_user_sgpr_count 2
		.amdhsa_user_sgpr_dispatch_ptr 0
		.amdhsa_user_sgpr_queue_ptr 0
		.amdhsa_user_sgpr_kernarg_segment_ptr 1
		.amdhsa_user_sgpr_dispatch_id 0
		.amdhsa_user_sgpr_kernarg_preload_length 0
		.amdhsa_user_sgpr_kernarg_preload_offset 0
		.amdhsa_user_sgpr_private_segment_size 0
		.amdhsa_wavefront_size32 1
		.amdhsa_uses_dynamic_stack 0
		.amdhsa_enable_private_segment 0
		.amdhsa_system_sgpr_workgroup_id_x 1
		.amdhsa_system_sgpr_workgroup_id_y 0
		.amdhsa_system_sgpr_workgroup_id_z 0
		.amdhsa_system_sgpr_workgroup_info 0
		.amdhsa_system_vgpr_workitem_id 0
		.amdhsa_next_free_vgpr 18
		.amdhsa_next_free_sgpr 5
		.amdhsa_named_barrier_count 0
		.amdhsa_reserve_vcc 0
		.amdhsa_float_round_mode_32 0
		.amdhsa_float_round_mode_16_64 0
		.amdhsa_float_denorm_mode_32 3
		.amdhsa_float_denorm_mode_16_64 3
		.amdhsa_fp16_overflow 0
		.amdhsa_memory_ordered 1
		.amdhsa_forward_progress 1
		.amdhsa_inst_pref_size 15
		.amdhsa_round_robin_scheduling 0
		.amdhsa_exception_fp_ieee_invalid_op 0
		.amdhsa_exception_fp_denorm_src 0
		.amdhsa_exception_fp_ieee_div_zero 0
		.amdhsa_exception_fp_ieee_overflow 0
		.amdhsa_exception_fp_ieee_underflow 0
		.amdhsa_exception_fp_ieee_inexact 0
		.amdhsa_exception_int_div_zero 0
	.end_amdhsa_kernel
	.section	.text._Z17warp_store_kernelILj256ELj64ELj32ELN6hipcub18WarpStoreAlgorithmE1EdEvPT3_,"axG",@progbits,_Z17warp_store_kernelILj256ELj64ELj32ELN6hipcub18WarpStoreAlgorithmE1EdEvPT3_,comdat
.Lfunc_end35:
	.size	_Z17warp_store_kernelILj256ELj64ELj32ELN6hipcub18WarpStoreAlgorithmE1EdEvPT3_, .Lfunc_end35-_Z17warp_store_kernelILj256ELj64ELj32ELN6hipcub18WarpStoreAlgorithmE1EdEvPT3_
                                        ; -- End function
	.set _Z17warp_store_kernelILj256ELj64ELj32ELN6hipcub18WarpStoreAlgorithmE1EdEvPT3_.num_vgpr, 18
	.set _Z17warp_store_kernelILj256ELj64ELj32ELN6hipcub18WarpStoreAlgorithmE1EdEvPT3_.num_agpr, 0
	.set _Z17warp_store_kernelILj256ELj64ELj32ELN6hipcub18WarpStoreAlgorithmE1EdEvPT3_.numbered_sgpr, 5
	.set _Z17warp_store_kernelILj256ELj64ELj32ELN6hipcub18WarpStoreAlgorithmE1EdEvPT3_.num_named_barrier, 0
	.set _Z17warp_store_kernelILj256ELj64ELj32ELN6hipcub18WarpStoreAlgorithmE1EdEvPT3_.private_seg_size, 0
	.set _Z17warp_store_kernelILj256ELj64ELj32ELN6hipcub18WarpStoreAlgorithmE1EdEvPT3_.uses_vcc, 0
	.set _Z17warp_store_kernelILj256ELj64ELj32ELN6hipcub18WarpStoreAlgorithmE1EdEvPT3_.uses_flat_scratch, 0
	.set _Z17warp_store_kernelILj256ELj64ELj32ELN6hipcub18WarpStoreAlgorithmE1EdEvPT3_.has_dyn_sized_stack, 0
	.set _Z17warp_store_kernelILj256ELj64ELj32ELN6hipcub18WarpStoreAlgorithmE1EdEvPT3_.has_recursion, 0
	.set _Z17warp_store_kernelILj256ELj64ELj32ELN6hipcub18WarpStoreAlgorithmE1EdEvPT3_.has_indirect_call, 0
	.section	.AMDGPU.csdata,"",@progbits
; Kernel info:
; codeLenInByte = 1856
; TotalNumSgprs: 5
; NumVgprs: 18
; ScratchSize: 0
; MemoryBound: 1
; FloatMode: 240
; IeeeMode: 1
; LDSByteSize: 0 bytes/workgroup (compile time only)
; SGPRBlocks: 0
; VGPRBlocks: 1
; NumSGPRsForWavesPerEU: 5
; NumVGPRsForWavesPerEU: 18
; NamedBarCnt: 0
; Occupancy: 16
; WaveLimiterHint : 1
; COMPUTE_PGM_RSRC2:SCRATCH_EN: 0
; COMPUTE_PGM_RSRC2:USER_SGPR: 2
; COMPUTE_PGM_RSRC2:TRAP_HANDLER: 0
; COMPUTE_PGM_RSRC2:TGID_X_EN: 1
; COMPUTE_PGM_RSRC2:TGID_Y_EN: 0
; COMPUTE_PGM_RSRC2:TGID_Z_EN: 0
; COMPUTE_PGM_RSRC2:TIDIG_COMP_CNT: 0
	.section	.text._Z17warp_store_kernelILj256ELj64ELj32ELN6hipcub18WarpStoreAlgorithmE2EdEvPT3_,"axG",@progbits,_Z17warp_store_kernelILj256ELj64ELj32ELN6hipcub18WarpStoreAlgorithmE2EdEvPT3_,comdat
	.protected	_Z17warp_store_kernelILj256ELj64ELj32ELN6hipcub18WarpStoreAlgorithmE2EdEvPT3_ ; -- Begin function _Z17warp_store_kernelILj256ELj64ELj32ELN6hipcub18WarpStoreAlgorithmE2EdEvPT3_
	.globl	_Z17warp_store_kernelILj256ELj64ELj32ELN6hipcub18WarpStoreAlgorithmE2EdEvPT3_
	.p2align	8
	.type	_Z17warp_store_kernelILj256ELj64ELj32ELN6hipcub18WarpStoreAlgorithmE2EdEvPT3_,@function
_Z17warp_store_kernelILj256ELj64ELj32ELN6hipcub18WarpStoreAlgorithmE2EdEvPT3_: ; @_Z17warp_store_kernelILj256ELj64ELj32ELN6hipcub18WarpStoreAlgorithmE2EdEvPT3_
; %bb.0:
	s_load_b64 s[0:1], s[0:1], 0x0
	s_bfe_u32 s2, ttmp6, 0x4000c
	s_and_b32 s3, ttmp6, 15
	s_add_co_i32 s2, s2, 1
	s_getreg_b32 s4, hwreg(HW_REG_IB_STS2, 6, 4)
	s_mul_i32 s2, ttmp9, s2
	v_dual_mov_b32 v1, 0 :: v_dual_lshlrev_b32 v0, 6, v0
	s_add_co_i32 s3, s3, s2
	s_cmp_eq_u32 s4, 0
	v_mbcnt_lo_u32_b32 v2, -1, 0
	s_cselect_b32 s2, ttmp9, s3
	v_mov_b32_e32 v3, 0x3ff00000
	s_lshl_b32 s2, s2, 14
	v_mov_b32_e32 v5, 2.0
	v_and_or_b32 v0, 0x3800, v0, s2
	v_mov_b32_e32 v9, 0x40100000
	v_dual_mov_b32 v7, 0x40080000 :: v_dual_mov_b32 v4, v1
	v_dual_mov_b32 v11, 0x40140000 :: v_dual_mov_b32 v6, v1
	s_wait_kmcnt 0x0
	v_lshl_add_u64 v[16:17], v[0:1], 3, s[0:1]
	v_dual_lshlrev_b32 v0, 9, v2 :: v_dual_mov_b32 v2, v1
	v_dual_mov_b32 v13, 0x40180000 :: v_dual_mov_b32 v8, v1
	v_dual_mov_b32 v15, 0x401c0000 :: v_dual_mov_b32 v10, v1
	s_delay_alu instid0(VALU_DEP_3)
	v_add_nc_u64_e32 v[28:29], v[16:17], v[0:1]
	v_dual_mov_b32 v0, v1 :: v_dual_mov_b32 v12, v1
	v_mov_b32_e32 v14, v1
	s_clause 0x1
	global_store_b128 v[28:29], v[0:3], off
	global_store_b128 v[28:29], v[4:7], off offset:16
	s_wait_xcnt 0x1
	v_dual_mov_b32 v3, 0x40200000 :: v_dual_mov_b32 v16, v1
	s_wait_xcnt 0x0
	v_dual_mov_b32 v5, 0x40220000 :: v_dual_mov_b32 v18, v1
	v_dual_mov_b32 v17, 0x40240000 :: v_dual_mov_b32 v20, v1
	;; [unrolled: 1-line block ×5, first 2 shown]
	v_mov_b32_e32 v25, 0x402c0000
	v_mov_b32_e32 v27, 0x402e0000
	s_clause 0x5
	global_store_b128 v[28:29], v[8:11], off offset:32
	global_store_b128 v[28:29], v[12:15], off offset:48
	;; [unrolled: 1-line block ×6, first 2 shown]
	s_wait_xcnt 0x3
	v_mov_b32_e32 v3, 0x40300000
	v_mov_b32_e32 v5, 0x40310000
	;; [unrolled: 1-line block ×7, first 2 shown]
	s_wait_xcnt 0x2
	v_mov_b32_e32 v17, 0x40370000
	v_mov_b32_e32 v19, 0x40380000
	s_wait_xcnt 0x1
	v_mov_b32_e32 v21, 0x40390000
	v_mov_b32_e32 v23, 0x403a0000
	s_wait_xcnt 0x0
	v_mov_b32_e32 v25, 0x403b0000
	s_clause 0x5
	global_store_b128 v[28:29], v[2:5], off offset:128
	global_store_b128 v[28:29], v[6:9], off offset:144
	global_store_b128 v[28:29], v[10:13], off offset:160
	global_store_b128 v[28:29], v[14:17], off offset:176
	global_store_b128 v[28:29], v[18:21], off offset:192
	global_store_b128 v[28:29], v[22:25], off offset:208
	s_wait_xcnt 0x5
	v_mov_b32_e32 v3, 0x403c0000
	v_mov_b32_e32 v5, 0x403d0000
	s_wait_xcnt 0x4
	v_mov_b32_e32 v7, 0x403e0000
	v_mov_b32_e32 v9, 0x403f0000
	s_wait_xcnt 0x3
	v_mov_b32_e32 v11, 0x40400000
	v_mov_b32_e32 v13, 0x40408000
	s_wait_xcnt 0x2
	v_mov_b32_e32 v15, 0x40410000
	v_mov_b32_e32 v17, 0x40418000
	s_wait_xcnt 0x1
	v_mov_b32_e32 v19, 0x40420000
	v_mov_b32_e32 v21, 0x40428000
	s_wait_xcnt 0x0
	v_mov_b32_e32 v23, 0x40430000
	v_mov_b32_e32 v25, 0x40438000
	s_clause 0x5
	global_store_b128 v[28:29], v[2:5], off offset:224
	global_store_b128 v[28:29], v[6:9], off offset:240
	global_store_b128 v[28:29], v[10:13], off offset:256
	global_store_b128 v[28:29], v[14:17], off offset:272
	global_store_b128 v[28:29], v[18:21], off offset:288
	global_store_b128 v[28:29], v[22:25], off offset:304
	s_wait_xcnt 0x5
	v_mov_b32_e32 v3, 0x40440000
	v_mov_b32_e32 v5, 0x40448000
	s_wait_xcnt 0x4
	v_mov_b32_e32 v7, 0x40450000
	v_mov_b32_e32 v9, 0x40458000
	s_wait_xcnt 0x3
	v_mov_b32_e32 v11, 0x40460000
	v_mov_b32_e32 v13, 0x40468000
	s_wait_xcnt 0x2
	v_mov_b32_e32 v15, 0x40470000
	v_mov_b32_e32 v17, 0x40478000
	s_wait_xcnt 0x1
	v_mov_b32_e32 v19, 0x40480000
	v_mov_b32_e32 v21, 0x40488000
	s_wait_xcnt 0x0
	v_mov_b32_e32 v23, 0x40490000
	;; [unrolled: 25-line block ×3, first 2 shown]
	v_mov_b32_e32 v25, 0x404f8000
	s_clause 0x5
	global_store_b128 v[28:29], v[2:5], off offset:416
	global_store_b128 v[28:29], v[6:9], off offset:432
	;; [unrolled: 1-line block ×6, first 2 shown]
	s_endpgm
	.section	.rodata,"a",@progbits
	.p2align	6, 0x0
	.amdhsa_kernel _Z17warp_store_kernelILj256ELj64ELj32ELN6hipcub18WarpStoreAlgorithmE2EdEvPT3_
		.amdhsa_group_segment_fixed_size 0
		.amdhsa_private_segment_fixed_size 0
		.amdhsa_kernarg_size 8
		.amdhsa_user_sgpr_count 2
		.amdhsa_user_sgpr_dispatch_ptr 0
		.amdhsa_user_sgpr_queue_ptr 0
		.amdhsa_user_sgpr_kernarg_segment_ptr 1
		.amdhsa_user_sgpr_dispatch_id 0
		.amdhsa_user_sgpr_kernarg_preload_length 0
		.amdhsa_user_sgpr_kernarg_preload_offset 0
		.amdhsa_user_sgpr_private_segment_size 0
		.amdhsa_wavefront_size32 1
		.amdhsa_uses_dynamic_stack 0
		.amdhsa_enable_private_segment 0
		.amdhsa_system_sgpr_workgroup_id_x 1
		.amdhsa_system_sgpr_workgroup_id_y 0
		.amdhsa_system_sgpr_workgroup_id_z 0
		.amdhsa_system_sgpr_workgroup_info 0
		.amdhsa_system_vgpr_workitem_id 0
		.amdhsa_next_free_vgpr 30
		.amdhsa_next_free_sgpr 5
		.amdhsa_named_barrier_count 0
		.amdhsa_reserve_vcc 0
		.amdhsa_float_round_mode_32 0
		.amdhsa_float_round_mode_16_64 0
		.amdhsa_float_denorm_mode_32 3
		.amdhsa_float_denorm_mode_16_64 3
		.amdhsa_fp16_overflow 0
		.amdhsa_memory_ordered 1
		.amdhsa_forward_progress 1
		.amdhsa_inst_pref_size 10
		.amdhsa_round_robin_scheduling 0
		.amdhsa_exception_fp_ieee_invalid_op 0
		.amdhsa_exception_fp_denorm_src 0
		.amdhsa_exception_fp_ieee_div_zero 0
		.amdhsa_exception_fp_ieee_overflow 0
		.amdhsa_exception_fp_ieee_underflow 0
		.amdhsa_exception_fp_ieee_inexact 0
		.amdhsa_exception_int_div_zero 0
	.end_amdhsa_kernel
	.section	.text._Z17warp_store_kernelILj256ELj64ELj32ELN6hipcub18WarpStoreAlgorithmE2EdEvPT3_,"axG",@progbits,_Z17warp_store_kernelILj256ELj64ELj32ELN6hipcub18WarpStoreAlgorithmE2EdEvPT3_,comdat
.Lfunc_end36:
	.size	_Z17warp_store_kernelILj256ELj64ELj32ELN6hipcub18WarpStoreAlgorithmE2EdEvPT3_, .Lfunc_end36-_Z17warp_store_kernelILj256ELj64ELj32ELN6hipcub18WarpStoreAlgorithmE2EdEvPT3_
                                        ; -- End function
	.set _Z17warp_store_kernelILj256ELj64ELj32ELN6hipcub18WarpStoreAlgorithmE2EdEvPT3_.num_vgpr, 30
	.set _Z17warp_store_kernelILj256ELj64ELj32ELN6hipcub18WarpStoreAlgorithmE2EdEvPT3_.num_agpr, 0
	.set _Z17warp_store_kernelILj256ELj64ELj32ELN6hipcub18WarpStoreAlgorithmE2EdEvPT3_.numbered_sgpr, 5
	.set _Z17warp_store_kernelILj256ELj64ELj32ELN6hipcub18WarpStoreAlgorithmE2EdEvPT3_.num_named_barrier, 0
	.set _Z17warp_store_kernelILj256ELj64ELj32ELN6hipcub18WarpStoreAlgorithmE2EdEvPT3_.private_seg_size, 0
	.set _Z17warp_store_kernelILj256ELj64ELj32ELN6hipcub18WarpStoreAlgorithmE2EdEvPT3_.uses_vcc, 0
	.set _Z17warp_store_kernelILj256ELj64ELj32ELN6hipcub18WarpStoreAlgorithmE2EdEvPT3_.uses_flat_scratch, 0
	.set _Z17warp_store_kernelILj256ELj64ELj32ELN6hipcub18WarpStoreAlgorithmE2EdEvPT3_.has_dyn_sized_stack, 0
	.set _Z17warp_store_kernelILj256ELj64ELj32ELN6hipcub18WarpStoreAlgorithmE2EdEvPT3_.has_recursion, 0
	.set _Z17warp_store_kernelILj256ELj64ELj32ELN6hipcub18WarpStoreAlgorithmE2EdEvPT3_.has_indirect_call, 0
	.section	.AMDGPU.csdata,"",@progbits
; Kernel info:
; codeLenInByte = 1172
; TotalNumSgprs: 5
; NumVgprs: 30
; ScratchSize: 0
; MemoryBound: 1
; FloatMode: 240
; IeeeMode: 1
; LDSByteSize: 0 bytes/workgroup (compile time only)
; SGPRBlocks: 0
; VGPRBlocks: 1
; NumSGPRsForWavesPerEU: 5
; NumVGPRsForWavesPerEU: 30
; NamedBarCnt: 0
; Occupancy: 16
; WaveLimiterHint : 1
; COMPUTE_PGM_RSRC2:SCRATCH_EN: 0
; COMPUTE_PGM_RSRC2:USER_SGPR: 2
; COMPUTE_PGM_RSRC2:TRAP_HANDLER: 0
; COMPUTE_PGM_RSRC2:TGID_X_EN: 1
; COMPUTE_PGM_RSRC2:TGID_Y_EN: 0
; COMPUTE_PGM_RSRC2:TGID_Z_EN: 0
; COMPUTE_PGM_RSRC2:TIDIG_COMP_CNT: 0
	.section	.text._Z17warp_store_kernelILj256ELj4ELj64ELN6hipcub18WarpStoreAlgorithmE0EiEvPT3_,"axG",@progbits,_Z17warp_store_kernelILj256ELj4ELj64ELN6hipcub18WarpStoreAlgorithmE0EiEvPT3_,comdat
	.protected	_Z17warp_store_kernelILj256ELj4ELj64ELN6hipcub18WarpStoreAlgorithmE0EiEvPT3_ ; -- Begin function _Z17warp_store_kernelILj256ELj4ELj64ELN6hipcub18WarpStoreAlgorithmE0EiEvPT3_
	.globl	_Z17warp_store_kernelILj256ELj4ELj64ELN6hipcub18WarpStoreAlgorithmE0EiEvPT3_
	.p2align	8
	.type	_Z17warp_store_kernelILj256ELj4ELj64ELN6hipcub18WarpStoreAlgorithmE0EiEvPT3_,@function
_Z17warp_store_kernelILj256ELj4ELj64ELN6hipcub18WarpStoreAlgorithmE0EiEvPT3_: ; @_Z17warp_store_kernelILj256ELj4ELj64ELN6hipcub18WarpStoreAlgorithmE0EiEvPT3_
; %bb.0:
	s_load_b64 s[0:1], s[0:1], 0x0
	s_bfe_u32 s2, ttmp6, 0x4000c
	s_and_b32 s3, ttmp6, 15
	s_add_co_i32 s2, s2, 1
	s_getreg_b32 s4, hwreg(HW_REG_IB_STS2, 6, 4)
	s_mul_i32 s2, ttmp9, s2
	v_dual_mov_b32 v5, 0 :: v_dual_lshlrev_b32 v0, 2, v0
	s_add_co_i32 s3, s3, s2
	s_cmp_eq_u32 s4, 0
	v_mov_b32_e32 v1, 1
	s_cselect_b32 s2, ttmp9, s3
	s_delay_alu instid0(SALU_CYCLE_1) | instskip(NEXT) | instid1(SALU_CYCLE_1)
	s_lshl_b32 s2, s2, 10
	v_and_or_b32 v4, 0x300, v0, s2
	v_mbcnt_lo_u32_b32 v0, -1, 0
	s_wait_kmcnt 0x0
	s_delay_alu instid0(VALU_DEP_2) | instskip(NEXT) | instid1(VALU_DEP_2)
	v_lshl_add_u64 v[2:3], v[4:5], 2, s[0:1]
	v_dual_lshlrev_b32 v4, 4, v0 :: v_dual_mov_b32 v0, v5
	s_delay_alu instid0(VALU_DEP_1)
	v_add_nc_u64_e32 v[6:7], v[2:3], v[4:5]
	v_dual_mov_b32 v2, 2 :: v_dual_mov_b32 v3, 3
	global_store_b128 v[6:7], v[0:3], off
	s_endpgm
	.section	.rodata,"a",@progbits
	.p2align	6, 0x0
	.amdhsa_kernel _Z17warp_store_kernelILj256ELj4ELj64ELN6hipcub18WarpStoreAlgorithmE0EiEvPT3_
		.amdhsa_group_segment_fixed_size 0
		.amdhsa_private_segment_fixed_size 0
		.amdhsa_kernarg_size 8
		.amdhsa_user_sgpr_count 2
		.amdhsa_user_sgpr_dispatch_ptr 0
		.amdhsa_user_sgpr_queue_ptr 0
		.amdhsa_user_sgpr_kernarg_segment_ptr 1
		.amdhsa_user_sgpr_dispatch_id 0
		.amdhsa_user_sgpr_kernarg_preload_length 0
		.amdhsa_user_sgpr_kernarg_preload_offset 0
		.amdhsa_user_sgpr_private_segment_size 0
		.amdhsa_wavefront_size32 1
		.amdhsa_uses_dynamic_stack 0
		.amdhsa_enable_private_segment 0
		.amdhsa_system_sgpr_workgroup_id_x 1
		.amdhsa_system_sgpr_workgroup_id_y 0
		.amdhsa_system_sgpr_workgroup_id_z 0
		.amdhsa_system_sgpr_workgroup_info 0
		.amdhsa_system_vgpr_workitem_id 0
		.amdhsa_next_free_vgpr 8
		.amdhsa_next_free_sgpr 5
		.amdhsa_named_barrier_count 0
		.amdhsa_reserve_vcc 0
		.amdhsa_float_round_mode_32 0
		.amdhsa_float_round_mode_16_64 0
		.amdhsa_float_denorm_mode_32 3
		.amdhsa_float_denorm_mode_16_64 3
		.amdhsa_fp16_overflow 0
		.amdhsa_memory_ordered 1
		.amdhsa_forward_progress 1
		.amdhsa_inst_pref_size 2
		.amdhsa_round_robin_scheduling 0
		.amdhsa_exception_fp_ieee_invalid_op 0
		.amdhsa_exception_fp_denorm_src 0
		.amdhsa_exception_fp_ieee_div_zero 0
		.amdhsa_exception_fp_ieee_overflow 0
		.amdhsa_exception_fp_ieee_underflow 0
		.amdhsa_exception_fp_ieee_inexact 0
		.amdhsa_exception_int_div_zero 0
	.end_amdhsa_kernel
	.section	.text._Z17warp_store_kernelILj256ELj4ELj64ELN6hipcub18WarpStoreAlgorithmE0EiEvPT3_,"axG",@progbits,_Z17warp_store_kernelILj256ELj4ELj64ELN6hipcub18WarpStoreAlgorithmE0EiEvPT3_,comdat
.Lfunc_end37:
	.size	_Z17warp_store_kernelILj256ELj4ELj64ELN6hipcub18WarpStoreAlgorithmE0EiEvPT3_, .Lfunc_end37-_Z17warp_store_kernelILj256ELj4ELj64ELN6hipcub18WarpStoreAlgorithmE0EiEvPT3_
                                        ; -- End function
	.set _Z17warp_store_kernelILj256ELj4ELj64ELN6hipcub18WarpStoreAlgorithmE0EiEvPT3_.num_vgpr, 8
	.set _Z17warp_store_kernelILj256ELj4ELj64ELN6hipcub18WarpStoreAlgorithmE0EiEvPT3_.num_agpr, 0
	.set _Z17warp_store_kernelILj256ELj4ELj64ELN6hipcub18WarpStoreAlgorithmE0EiEvPT3_.numbered_sgpr, 5
	.set _Z17warp_store_kernelILj256ELj4ELj64ELN6hipcub18WarpStoreAlgorithmE0EiEvPT3_.num_named_barrier, 0
	.set _Z17warp_store_kernelILj256ELj4ELj64ELN6hipcub18WarpStoreAlgorithmE0EiEvPT3_.private_seg_size, 0
	.set _Z17warp_store_kernelILj256ELj4ELj64ELN6hipcub18WarpStoreAlgorithmE0EiEvPT3_.uses_vcc, 0
	.set _Z17warp_store_kernelILj256ELj4ELj64ELN6hipcub18WarpStoreAlgorithmE0EiEvPT3_.uses_flat_scratch, 0
	.set _Z17warp_store_kernelILj256ELj4ELj64ELN6hipcub18WarpStoreAlgorithmE0EiEvPT3_.has_dyn_sized_stack, 0
	.set _Z17warp_store_kernelILj256ELj4ELj64ELN6hipcub18WarpStoreAlgorithmE0EiEvPT3_.has_recursion, 0
	.set _Z17warp_store_kernelILj256ELj4ELj64ELN6hipcub18WarpStoreAlgorithmE0EiEvPT3_.has_indirect_call, 0
	.section	.AMDGPU.csdata,"",@progbits
; Kernel info:
; codeLenInByte = 144
; TotalNumSgprs: 5
; NumVgprs: 8
; ScratchSize: 0
; MemoryBound: 0
; FloatMode: 240
; IeeeMode: 1
; LDSByteSize: 0 bytes/workgroup (compile time only)
; SGPRBlocks: 0
; VGPRBlocks: 0
; NumSGPRsForWavesPerEU: 5
; NumVGPRsForWavesPerEU: 8
; NamedBarCnt: 0
; Occupancy: 16
; WaveLimiterHint : 0
; COMPUTE_PGM_RSRC2:SCRATCH_EN: 0
; COMPUTE_PGM_RSRC2:USER_SGPR: 2
; COMPUTE_PGM_RSRC2:TRAP_HANDLER: 0
; COMPUTE_PGM_RSRC2:TGID_X_EN: 1
; COMPUTE_PGM_RSRC2:TGID_Y_EN: 0
; COMPUTE_PGM_RSRC2:TGID_Z_EN: 0
; COMPUTE_PGM_RSRC2:TIDIG_COMP_CNT: 0
	.section	.text._Z17warp_store_kernelILj256ELj4ELj64ELN6hipcub18WarpStoreAlgorithmE1EiEvPT3_,"axG",@progbits,_Z17warp_store_kernelILj256ELj4ELj64ELN6hipcub18WarpStoreAlgorithmE1EiEvPT3_,comdat
	.protected	_Z17warp_store_kernelILj256ELj4ELj64ELN6hipcub18WarpStoreAlgorithmE1EiEvPT3_ ; -- Begin function _Z17warp_store_kernelILj256ELj4ELj64ELN6hipcub18WarpStoreAlgorithmE1EiEvPT3_
	.globl	_Z17warp_store_kernelILj256ELj4ELj64ELN6hipcub18WarpStoreAlgorithmE1EiEvPT3_
	.p2align	8
	.type	_Z17warp_store_kernelILj256ELj4ELj64ELN6hipcub18WarpStoreAlgorithmE1EiEvPT3_,@function
_Z17warp_store_kernelILj256ELj4ELj64ELN6hipcub18WarpStoreAlgorithmE1EiEvPT3_: ; @_Z17warp_store_kernelILj256ELj4ELj64ELN6hipcub18WarpStoreAlgorithmE1EiEvPT3_
; %bb.0:
	s_load_b64 s[0:1], s[0:1], 0x0
	s_bfe_u32 s2, ttmp6, 0x4000c
	s_and_b32 s3, ttmp6, 15
	s_add_co_i32 s2, s2, 1
	s_getreg_b32 s4, hwreg(HW_REG_IB_STS2, 6, 4)
	s_mul_i32 s2, ttmp9, s2
	v_dual_mov_b32 v1, 0 :: v_dual_lshlrev_b32 v0, 2, v0
	s_add_co_i32 s3, s3, s2
	s_cmp_eq_u32 s4, 0
	v_mbcnt_lo_u32_b32 v4, -1, 0
	s_cselect_b32 s2, ttmp9, s3
	v_mov_b32_e32 v5, 3
	s_lshl_b32 s2, s2, 10
	s_delay_alu instid0(SALU_CYCLE_1) | instskip(SKIP_1) | instid1(VALU_DEP_1)
	v_and_or_b32 v0, 0x300, v0, s2
	s_wait_kmcnt 0x0
	v_lshl_add_u64 v[2:3], v[0:1], 2, s[0:1]
	v_dual_lshlrev_b32 v0, 2, v4 :: v_dual_mov_b32 v4, 2
	s_delay_alu instid0(VALU_DEP_1)
	v_add_nc_u64_e32 v[2:3], v[2:3], v[0:1]
	v_mov_b32_e32 v0, 1
	s_clause 0x3
	global_store_b32 v[2:3], v1, off
	global_store_b32 v[2:3], v0, off offset:256
	global_store_b32 v[2:3], v4, off offset:512
	global_store_b32 v[2:3], v5, off offset:768
	s_endpgm
	.section	.rodata,"a",@progbits
	.p2align	6, 0x0
	.amdhsa_kernel _Z17warp_store_kernelILj256ELj4ELj64ELN6hipcub18WarpStoreAlgorithmE1EiEvPT3_
		.amdhsa_group_segment_fixed_size 0
		.amdhsa_private_segment_fixed_size 0
		.amdhsa_kernarg_size 8
		.amdhsa_user_sgpr_count 2
		.amdhsa_user_sgpr_dispatch_ptr 0
		.amdhsa_user_sgpr_queue_ptr 0
		.amdhsa_user_sgpr_kernarg_segment_ptr 1
		.amdhsa_user_sgpr_dispatch_id 0
		.amdhsa_user_sgpr_kernarg_preload_length 0
		.amdhsa_user_sgpr_kernarg_preload_offset 0
		.amdhsa_user_sgpr_private_segment_size 0
		.amdhsa_wavefront_size32 1
		.amdhsa_uses_dynamic_stack 0
		.amdhsa_enable_private_segment 0
		.amdhsa_system_sgpr_workgroup_id_x 1
		.amdhsa_system_sgpr_workgroup_id_y 0
		.amdhsa_system_sgpr_workgroup_id_z 0
		.amdhsa_system_sgpr_workgroup_info 0
		.amdhsa_system_vgpr_workitem_id 0
		.amdhsa_next_free_vgpr 6
		.amdhsa_next_free_sgpr 5
		.amdhsa_named_barrier_count 0
		.amdhsa_reserve_vcc 0
		.amdhsa_float_round_mode_32 0
		.amdhsa_float_round_mode_16_64 0
		.amdhsa_float_denorm_mode_32 3
		.amdhsa_float_denorm_mode_16_64 3
		.amdhsa_fp16_overflow 0
		.amdhsa_memory_ordered 1
		.amdhsa_forward_progress 1
		.amdhsa_inst_pref_size 2
		.amdhsa_round_robin_scheduling 0
		.amdhsa_exception_fp_ieee_invalid_op 0
		.amdhsa_exception_fp_denorm_src 0
		.amdhsa_exception_fp_ieee_div_zero 0
		.amdhsa_exception_fp_ieee_overflow 0
		.amdhsa_exception_fp_ieee_underflow 0
		.amdhsa_exception_fp_ieee_inexact 0
		.amdhsa_exception_int_div_zero 0
	.end_amdhsa_kernel
	.section	.text._Z17warp_store_kernelILj256ELj4ELj64ELN6hipcub18WarpStoreAlgorithmE1EiEvPT3_,"axG",@progbits,_Z17warp_store_kernelILj256ELj4ELj64ELN6hipcub18WarpStoreAlgorithmE1EiEvPT3_,comdat
.Lfunc_end38:
	.size	_Z17warp_store_kernelILj256ELj4ELj64ELN6hipcub18WarpStoreAlgorithmE1EiEvPT3_, .Lfunc_end38-_Z17warp_store_kernelILj256ELj4ELj64ELN6hipcub18WarpStoreAlgorithmE1EiEvPT3_
                                        ; -- End function
	.set _Z17warp_store_kernelILj256ELj4ELj64ELN6hipcub18WarpStoreAlgorithmE1EiEvPT3_.num_vgpr, 6
	.set _Z17warp_store_kernelILj256ELj4ELj64ELN6hipcub18WarpStoreAlgorithmE1EiEvPT3_.num_agpr, 0
	.set _Z17warp_store_kernelILj256ELj4ELj64ELN6hipcub18WarpStoreAlgorithmE1EiEvPT3_.numbered_sgpr, 5
	.set _Z17warp_store_kernelILj256ELj4ELj64ELN6hipcub18WarpStoreAlgorithmE1EiEvPT3_.num_named_barrier, 0
	.set _Z17warp_store_kernelILj256ELj4ELj64ELN6hipcub18WarpStoreAlgorithmE1EiEvPT3_.private_seg_size, 0
	.set _Z17warp_store_kernelILj256ELj4ELj64ELN6hipcub18WarpStoreAlgorithmE1EiEvPT3_.uses_vcc, 0
	.set _Z17warp_store_kernelILj256ELj4ELj64ELN6hipcub18WarpStoreAlgorithmE1EiEvPT3_.uses_flat_scratch, 0
	.set _Z17warp_store_kernelILj256ELj4ELj64ELN6hipcub18WarpStoreAlgorithmE1EiEvPT3_.has_dyn_sized_stack, 0
	.set _Z17warp_store_kernelILj256ELj4ELj64ELN6hipcub18WarpStoreAlgorithmE1EiEvPT3_.has_recursion, 0
	.set _Z17warp_store_kernelILj256ELj4ELj64ELN6hipcub18WarpStoreAlgorithmE1EiEvPT3_.has_indirect_call, 0
	.section	.AMDGPU.csdata,"",@progbits
; Kernel info:
; codeLenInByte = 176
; TotalNumSgprs: 5
; NumVgprs: 6
; ScratchSize: 0
; MemoryBound: 0
; FloatMode: 240
; IeeeMode: 1
; LDSByteSize: 0 bytes/workgroup (compile time only)
; SGPRBlocks: 0
; VGPRBlocks: 0
; NumSGPRsForWavesPerEU: 5
; NumVGPRsForWavesPerEU: 6
; NamedBarCnt: 0
; Occupancy: 16
; WaveLimiterHint : 1
; COMPUTE_PGM_RSRC2:SCRATCH_EN: 0
; COMPUTE_PGM_RSRC2:USER_SGPR: 2
; COMPUTE_PGM_RSRC2:TRAP_HANDLER: 0
; COMPUTE_PGM_RSRC2:TGID_X_EN: 1
; COMPUTE_PGM_RSRC2:TGID_Y_EN: 0
; COMPUTE_PGM_RSRC2:TGID_Z_EN: 0
; COMPUTE_PGM_RSRC2:TIDIG_COMP_CNT: 0
	.section	.text._Z17warp_store_kernelILj256ELj4ELj64ELN6hipcub18WarpStoreAlgorithmE2EiEvPT3_,"axG",@progbits,_Z17warp_store_kernelILj256ELj4ELj64ELN6hipcub18WarpStoreAlgorithmE2EiEvPT3_,comdat
	.protected	_Z17warp_store_kernelILj256ELj4ELj64ELN6hipcub18WarpStoreAlgorithmE2EiEvPT3_ ; -- Begin function _Z17warp_store_kernelILj256ELj4ELj64ELN6hipcub18WarpStoreAlgorithmE2EiEvPT3_
	.globl	_Z17warp_store_kernelILj256ELj4ELj64ELN6hipcub18WarpStoreAlgorithmE2EiEvPT3_
	.p2align	8
	.type	_Z17warp_store_kernelILj256ELj4ELj64ELN6hipcub18WarpStoreAlgorithmE2EiEvPT3_,@function
_Z17warp_store_kernelILj256ELj4ELj64ELN6hipcub18WarpStoreAlgorithmE2EiEvPT3_: ; @_Z17warp_store_kernelILj256ELj4ELj64ELN6hipcub18WarpStoreAlgorithmE2EiEvPT3_
; %bb.0:
	s_load_b64 s[0:1], s[0:1], 0x0
	s_bfe_u32 s2, ttmp6, 0x4000c
	s_and_b32 s3, ttmp6, 15
	s_add_co_i32 s2, s2, 1
	s_getreg_b32 s4, hwreg(HW_REG_IB_STS2, 6, 4)
	s_mul_i32 s2, ttmp9, s2
	v_dual_mov_b32 v5, 0 :: v_dual_lshlrev_b32 v0, 2, v0
	s_add_co_i32 s3, s3, s2
	s_cmp_eq_u32 s4, 0
	v_mov_b32_e32 v1, 1
	s_cselect_b32 s2, ttmp9, s3
	s_delay_alu instid0(SALU_CYCLE_1) | instskip(NEXT) | instid1(SALU_CYCLE_1)
	s_lshl_b32 s2, s2, 10
	v_and_or_b32 v4, 0x300, v0, s2
	v_mbcnt_lo_u32_b32 v0, -1, 0
	s_wait_kmcnt 0x0
	s_delay_alu instid0(VALU_DEP_2) | instskip(NEXT) | instid1(VALU_DEP_2)
	v_lshl_add_u64 v[2:3], v[4:5], 2, s[0:1]
	v_dual_lshlrev_b32 v4, 4, v0 :: v_dual_mov_b32 v0, v5
	s_delay_alu instid0(VALU_DEP_1)
	v_add_nc_u64_e32 v[6:7], v[2:3], v[4:5]
	v_dual_mov_b32 v2, 2 :: v_dual_mov_b32 v3, 3
	global_store_b128 v[6:7], v[0:3], off
	s_endpgm
	.section	.rodata,"a",@progbits
	.p2align	6, 0x0
	.amdhsa_kernel _Z17warp_store_kernelILj256ELj4ELj64ELN6hipcub18WarpStoreAlgorithmE2EiEvPT3_
		.amdhsa_group_segment_fixed_size 0
		.amdhsa_private_segment_fixed_size 0
		.amdhsa_kernarg_size 8
		.amdhsa_user_sgpr_count 2
		.amdhsa_user_sgpr_dispatch_ptr 0
		.amdhsa_user_sgpr_queue_ptr 0
		.amdhsa_user_sgpr_kernarg_segment_ptr 1
		.amdhsa_user_sgpr_dispatch_id 0
		.amdhsa_user_sgpr_kernarg_preload_length 0
		.amdhsa_user_sgpr_kernarg_preload_offset 0
		.amdhsa_user_sgpr_private_segment_size 0
		.amdhsa_wavefront_size32 1
		.amdhsa_uses_dynamic_stack 0
		.amdhsa_enable_private_segment 0
		.amdhsa_system_sgpr_workgroup_id_x 1
		.amdhsa_system_sgpr_workgroup_id_y 0
		.amdhsa_system_sgpr_workgroup_id_z 0
		.amdhsa_system_sgpr_workgroup_info 0
		.amdhsa_system_vgpr_workitem_id 0
		.amdhsa_next_free_vgpr 8
		.amdhsa_next_free_sgpr 5
		.amdhsa_named_barrier_count 0
		.amdhsa_reserve_vcc 0
		.amdhsa_float_round_mode_32 0
		.amdhsa_float_round_mode_16_64 0
		.amdhsa_float_denorm_mode_32 3
		.amdhsa_float_denorm_mode_16_64 3
		.amdhsa_fp16_overflow 0
		.amdhsa_memory_ordered 1
		.amdhsa_forward_progress 1
		.amdhsa_inst_pref_size 2
		.amdhsa_round_robin_scheduling 0
		.amdhsa_exception_fp_ieee_invalid_op 0
		.amdhsa_exception_fp_denorm_src 0
		.amdhsa_exception_fp_ieee_div_zero 0
		.amdhsa_exception_fp_ieee_overflow 0
		.amdhsa_exception_fp_ieee_underflow 0
		.amdhsa_exception_fp_ieee_inexact 0
		.amdhsa_exception_int_div_zero 0
	.end_amdhsa_kernel
	.section	.text._Z17warp_store_kernelILj256ELj4ELj64ELN6hipcub18WarpStoreAlgorithmE2EiEvPT3_,"axG",@progbits,_Z17warp_store_kernelILj256ELj4ELj64ELN6hipcub18WarpStoreAlgorithmE2EiEvPT3_,comdat
.Lfunc_end39:
	.size	_Z17warp_store_kernelILj256ELj4ELj64ELN6hipcub18WarpStoreAlgorithmE2EiEvPT3_, .Lfunc_end39-_Z17warp_store_kernelILj256ELj4ELj64ELN6hipcub18WarpStoreAlgorithmE2EiEvPT3_
                                        ; -- End function
	.set _Z17warp_store_kernelILj256ELj4ELj64ELN6hipcub18WarpStoreAlgorithmE2EiEvPT3_.num_vgpr, 8
	.set _Z17warp_store_kernelILj256ELj4ELj64ELN6hipcub18WarpStoreAlgorithmE2EiEvPT3_.num_agpr, 0
	.set _Z17warp_store_kernelILj256ELj4ELj64ELN6hipcub18WarpStoreAlgorithmE2EiEvPT3_.numbered_sgpr, 5
	.set _Z17warp_store_kernelILj256ELj4ELj64ELN6hipcub18WarpStoreAlgorithmE2EiEvPT3_.num_named_barrier, 0
	.set _Z17warp_store_kernelILj256ELj4ELj64ELN6hipcub18WarpStoreAlgorithmE2EiEvPT3_.private_seg_size, 0
	.set _Z17warp_store_kernelILj256ELj4ELj64ELN6hipcub18WarpStoreAlgorithmE2EiEvPT3_.uses_vcc, 0
	.set _Z17warp_store_kernelILj256ELj4ELj64ELN6hipcub18WarpStoreAlgorithmE2EiEvPT3_.uses_flat_scratch, 0
	.set _Z17warp_store_kernelILj256ELj4ELj64ELN6hipcub18WarpStoreAlgorithmE2EiEvPT3_.has_dyn_sized_stack, 0
	.set _Z17warp_store_kernelILj256ELj4ELj64ELN6hipcub18WarpStoreAlgorithmE2EiEvPT3_.has_recursion, 0
	.set _Z17warp_store_kernelILj256ELj4ELj64ELN6hipcub18WarpStoreAlgorithmE2EiEvPT3_.has_indirect_call, 0
	.section	.AMDGPU.csdata,"",@progbits
; Kernel info:
; codeLenInByte = 144
; TotalNumSgprs: 5
; NumVgprs: 8
; ScratchSize: 0
; MemoryBound: 0
; FloatMode: 240
; IeeeMode: 1
; LDSByteSize: 0 bytes/workgroup (compile time only)
; SGPRBlocks: 0
; VGPRBlocks: 0
; NumSGPRsForWavesPerEU: 5
; NumVGPRsForWavesPerEU: 8
; NamedBarCnt: 0
; Occupancy: 16
; WaveLimiterHint : 0
; COMPUTE_PGM_RSRC2:SCRATCH_EN: 0
; COMPUTE_PGM_RSRC2:USER_SGPR: 2
; COMPUTE_PGM_RSRC2:TRAP_HANDLER: 0
; COMPUTE_PGM_RSRC2:TGID_X_EN: 1
; COMPUTE_PGM_RSRC2:TGID_Y_EN: 0
; COMPUTE_PGM_RSRC2:TGID_Z_EN: 0
; COMPUTE_PGM_RSRC2:TIDIG_COMP_CNT: 0
	.section	.text._Z17warp_store_kernelILj256ELj4ELj64ELN6hipcub18WarpStoreAlgorithmE3EiEvPT3_,"axG",@progbits,_Z17warp_store_kernelILj256ELj4ELj64ELN6hipcub18WarpStoreAlgorithmE3EiEvPT3_,comdat
	.protected	_Z17warp_store_kernelILj256ELj4ELj64ELN6hipcub18WarpStoreAlgorithmE3EiEvPT3_ ; -- Begin function _Z17warp_store_kernelILj256ELj4ELj64ELN6hipcub18WarpStoreAlgorithmE3EiEvPT3_
	.globl	_Z17warp_store_kernelILj256ELj4ELj64ELN6hipcub18WarpStoreAlgorithmE3EiEvPT3_
	.p2align	8
	.type	_Z17warp_store_kernelILj256ELj4ELj64ELN6hipcub18WarpStoreAlgorithmE3EiEvPT3_,@function
_Z17warp_store_kernelILj256ELj4ELj64ELN6hipcub18WarpStoreAlgorithmE3EiEvPT3_: ; @_Z17warp_store_kernelILj256ELj4ELj64ELN6hipcub18WarpStoreAlgorithmE3EiEvPT3_
; %bb.0:
	s_load_b64 s[0:1], s[0:1], 0x0
	s_bfe_u32 s2, ttmp6, 0x4000c
	s_and_b32 s3, ttmp6, 15
	s_add_co_i32 s2, s2, 1
	s_getreg_b32 s4, hwreg(HW_REG_IB_STS2, 6, 4)
	s_mul_i32 s2, ttmp9, s2
	v_dual_mov_b32 v5, 0 :: v_dual_lshrrev_b32 v0, 6, v0
	s_add_co_i32 s3, s3, s2
	s_cmp_eq_u32 s4, 0
	v_mbcnt_lo_u32_b32 v8, -1, 0
	s_cselect_b32 s2, ttmp9, s3
	v_dual_lshlrev_b32 v9, 10, v0 :: v_dual_mov_b32 v3, 3
	s_lshl_b32 s2, s2, 10
	v_dual_mov_b32 v1, 1 :: v_dual_mov_b32 v2, 2
	v_lshl_or_b32 v4, v0, 8, s2
	v_mov_b32_e32 v0, v5
	s_wait_kmcnt 0x0
	s_delay_alu instid0(VALU_DEP_2) | instskip(SKIP_2) | instid1(VALU_DEP_2)
	v_lshl_add_u64 v[6:7], v[4:5], 2, s[0:1]
	v_lshlrev_b32_e32 v4, 2, v8
	v_lshl_or_b32 v8, v8, 4, v9
	v_or_b32_e32 v9, v9, v4
	ds_store_b128 v8, v[0:3]
	; wave barrier
	ds_load_2addr_stride64_b32 v[0:1], v9 offset1:1
	ds_load_2addr_stride64_b32 v[2:3], v9 offset0:2 offset1:3
	v_add_nc_u64_e32 v[4:5], v[6:7], v[4:5]
	s_wait_dscnt 0x1
	s_clause 0x1
	global_store_b32 v[4:5], v0, off
	global_store_b32 v[4:5], v1, off offset:256
	s_wait_dscnt 0x0
	s_clause 0x1
	global_store_b32 v[4:5], v2, off offset:512
	global_store_b32 v[4:5], v3, off offset:768
	s_endpgm
	.section	.rodata,"a",@progbits
	.p2align	6, 0x0
	.amdhsa_kernel _Z17warp_store_kernelILj256ELj4ELj64ELN6hipcub18WarpStoreAlgorithmE3EiEvPT3_
		.amdhsa_group_segment_fixed_size 4096
		.amdhsa_private_segment_fixed_size 0
		.amdhsa_kernarg_size 8
		.amdhsa_user_sgpr_count 2
		.amdhsa_user_sgpr_dispatch_ptr 0
		.amdhsa_user_sgpr_queue_ptr 0
		.amdhsa_user_sgpr_kernarg_segment_ptr 1
		.amdhsa_user_sgpr_dispatch_id 0
		.amdhsa_user_sgpr_kernarg_preload_length 0
		.amdhsa_user_sgpr_kernarg_preload_offset 0
		.amdhsa_user_sgpr_private_segment_size 0
		.amdhsa_wavefront_size32 1
		.amdhsa_uses_dynamic_stack 0
		.amdhsa_enable_private_segment 0
		.amdhsa_system_sgpr_workgroup_id_x 1
		.amdhsa_system_sgpr_workgroup_id_y 0
		.amdhsa_system_sgpr_workgroup_id_z 0
		.amdhsa_system_sgpr_workgroup_info 0
		.amdhsa_system_vgpr_workitem_id 0
		.amdhsa_next_free_vgpr 10
		.amdhsa_next_free_sgpr 5
		.amdhsa_named_barrier_count 0
		.amdhsa_reserve_vcc 0
		.amdhsa_float_round_mode_32 0
		.amdhsa_float_round_mode_16_64 0
		.amdhsa_float_denorm_mode_32 3
		.amdhsa_float_denorm_mode_16_64 3
		.amdhsa_fp16_overflow 0
		.amdhsa_memory_ordered 1
		.amdhsa_forward_progress 1
		.amdhsa_inst_pref_size 2
		.amdhsa_round_robin_scheduling 0
		.amdhsa_exception_fp_ieee_invalid_op 0
		.amdhsa_exception_fp_denorm_src 0
		.amdhsa_exception_fp_ieee_div_zero 0
		.amdhsa_exception_fp_ieee_overflow 0
		.amdhsa_exception_fp_ieee_underflow 0
		.amdhsa_exception_fp_ieee_inexact 0
		.amdhsa_exception_int_div_zero 0
	.end_amdhsa_kernel
	.section	.text._Z17warp_store_kernelILj256ELj4ELj64ELN6hipcub18WarpStoreAlgorithmE3EiEvPT3_,"axG",@progbits,_Z17warp_store_kernelILj256ELj4ELj64ELN6hipcub18WarpStoreAlgorithmE3EiEvPT3_,comdat
.Lfunc_end40:
	.size	_Z17warp_store_kernelILj256ELj4ELj64ELN6hipcub18WarpStoreAlgorithmE3EiEvPT3_, .Lfunc_end40-_Z17warp_store_kernelILj256ELj4ELj64ELN6hipcub18WarpStoreAlgorithmE3EiEvPT3_
                                        ; -- End function
	.set _Z17warp_store_kernelILj256ELj4ELj64ELN6hipcub18WarpStoreAlgorithmE3EiEvPT3_.num_vgpr, 10
	.set _Z17warp_store_kernelILj256ELj4ELj64ELN6hipcub18WarpStoreAlgorithmE3EiEvPT3_.num_agpr, 0
	.set _Z17warp_store_kernelILj256ELj4ELj64ELN6hipcub18WarpStoreAlgorithmE3EiEvPT3_.numbered_sgpr, 5
	.set _Z17warp_store_kernelILj256ELj4ELj64ELN6hipcub18WarpStoreAlgorithmE3EiEvPT3_.num_named_barrier, 0
	.set _Z17warp_store_kernelILj256ELj4ELj64ELN6hipcub18WarpStoreAlgorithmE3EiEvPT3_.private_seg_size, 0
	.set _Z17warp_store_kernelILj256ELj4ELj64ELN6hipcub18WarpStoreAlgorithmE3EiEvPT3_.uses_vcc, 0
	.set _Z17warp_store_kernelILj256ELj4ELj64ELN6hipcub18WarpStoreAlgorithmE3EiEvPT3_.uses_flat_scratch, 0
	.set _Z17warp_store_kernelILj256ELj4ELj64ELN6hipcub18WarpStoreAlgorithmE3EiEvPT3_.has_dyn_sized_stack, 0
	.set _Z17warp_store_kernelILj256ELj4ELj64ELN6hipcub18WarpStoreAlgorithmE3EiEvPT3_.has_recursion, 0
	.set _Z17warp_store_kernelILj256ELj4ELj64ELN6hipcub18WarpStoreAlgorithmE3EiEvPT3_.has_indirect_call, 0
	.section	.AMDGPU.csdata,"",@progbits
; Kernel info:
; codeLenInByte = 224
; TotalNumSgprs: 5
; NumVgprs: 10
; ScratchSize: 0
; MemoryBound: 0
; FloatMode: 240
; IeeeMode: 1
; LDSByteSize: 4096 bytes/workgroup (compile time only)
; SGPRBlocks: 0
; VGPRBlocks: 0
; NumSGPRsForWavesPerEU: 5
; NumVGPRsForWavesPerEU: 10
; NamedBarCnt: 0
; Occupancy: 16
; WaveLimiterHint : 1
; COMPUTE_PGM_RSRC2:SCRATCH_EN: 0
; COMPUTE_PGM_RSRC2:USER_SGPR: 2
; COMPUTE_PGM_RSRC2:TRAP_HANDLER: 0
; COMPUTE_PGM_RSRC2:TGID_X_EN: 1
; COMPUTE_PGM_RSRC2:TGID_Y_EN: 0
; COMPUTE_PGM_RSRC2:TGID_Z_EN: 0
; COMPUTE_PGM_RSRC2:TIDIG_COMP_CNT: 0
	.section	.text._Z17warp_store_kernelILj256ELj8ELj64ELN6hipcub18WarpStoreAlgorithmE0EiEvPT3_,"axG",@progbits,_Z17warp_store_kernelILj256ELj8ELj64ELN6hipcub18WarpStoreAlgorithmE0EiEvPT3_,comdat
	.protected	_Z17warp_store_kernelILj256ELj8ELj64ELN6hipcub18WarpStoreAlgorithmE0EiEvPT3_ ; -- Begin function _Z17warp_store_kernelILj256ELj8ELj64ELN6hipcub18WarpStoreAlgorithmE0EiEvPT3_
	.globl	_Z17warp_store_kernelILj256ELj8ELj64ELN6hipcub18WarpStoreAlgorithmE0EiEvPT3_
	.p2align	8
	.type	_Z17warp_store_kernelILj256ELj8ELj64ELN6hipcub18WarpStoreAlgorithmE0EiEvPT3_,@function
_Z17warp_store_kernelILj256ELj8ELj64ELN6hipcub18WarpStoreAlgorithmE0EiEvPT3_: ; @_Z17warp_store_kernelILj256ELj8ELj64ELN6hipcub18WarpStoreAlgorithmE0EiEvPT3_
; %bb.0:
	s_load_b64 s[0:1], s[0:1], 0x0
	s_bfe_u32 s2, ttmp6, 0x4000c
	s_and_b32 s3, ttmp6, 15
	s_add_co_i32 s2, s2, 1
	s_getreg_b32 s4, hwreg(HW_REG_IB_STS2, 6, 4)
	s_mul_i32 s2, ttmp9, s2
	v_dual_mov_b32 v7, 0 :: v_dual_lshlrev_b32 v0, 3, v0
	s_add_co_i32 s3, s3, s2
	s_cmp_eq_u32 s4, 0
	v_dual_mov_b32 v2, 2 :: v_dual_mov_b32 v3, 3
	s_cselect_b32 s2, ttmp9, s3
	v_dual_mov_b32 v4, 4 :: v_dual_mov_b32 v5, 5
	s_lshl_b32 s2, s2, 11
	s_delay_alu instid0(SALU_CYCLE_1) | instskip(SKIP_3) | instid1(VALU_DEP_3)
	v_and_or_b32 v6, 0x600, v0, s2
	v_mbcnt_lo_u32_b32 v0, -1, 0
	v_mov_b32_e32 v1, 1
	s_wait_kmcnt 0x0
	v_lshl_add_u64 v[8:9], v[6:7], 2, s[0:1]
	s_delay_alu instid0(VALU_DEP_3) | instskip(NEXT) | instid1(VALU_DEP_1)
	v_dual_lshlrev_b32 v6, 5, v0 :: v_dual_mov_b32 v0, v7
	v_add_nc_u64_e32 v[8:9], v[8:9], v[6:7]
	v_dual_mov_b32 v6, 6 :: v_dual_mov_b32 v7, 7
	s_clause 0x1
	global_store_b128 v[8:9], v[0:3], off
	global_store_b128 v[8:9], v[4:7], off offset:16
	s_endpgm
	.section	.rodata,"a",@progbits
	.p2align	6, 0x0
	.amdhsa_kernel _Z17warp_store_kernelILj256ELj8ELj64ELN6hipcub18WarpStoreAlgorithmE0EiEvPT3_
		.amdhsa_group_segment_fixed_size 0
		.amdhsa_private_segment_fixed_size 0
		.amdhsa_kernarg_size 8
		.amdhsa_user_sgpr_count 2
		.amdhsa_user_sgpr_dispatch_ptr 0
		.amdhsa_user_sgpr_queue_ptr 0
		.amdhsa_user_sgpr_kernarg_segment_ptr 1
		.amdhsa_user_sgpr_dispatch_id 0
		.amdhsa_user_sgpr_kernarg_preload_length 0
		.amdhsa_user_sgpr_kernarg_preload_offset 0
		.amdhsa_user_sgpr_private_segment_size 0
		.amdhsa_wavefront_size32 1
		.amdhsa_uses_dynamic_stack 0
		.amdhsa_enable_private_segment 0
		.amdhsa_system_sgpr_workgroup_id_x 1
		.amdhsa_system_sgpr_workgroup_id_y 0
		.amdhsa_system_sgpr_workgroup_id_z 0
		.amdhsa_system_sgpr_workgroup_info 0
		.amdhsa_system_vgpr_workitem_id 0
		.amdhsa_next_free_vgpr 10
		.amdhsa_next_free_sgpr 5
		.amdhsa_named_barrier_count 0
		.amdhsa_reserve_vcc 0
		.amdhsa_float_round_mode_32 0
		.amdhsa_float_round_mode_16_64 0
		.amdhsa_float_denorm_mode_32 3
		.amdhsa_float_denorm_mode_16_64 3
		.amdhsa_fp16_overflow 0
		.amdhsa_memory_ordered 1
		.amdhsa_forward_progress 1
		.amdhsa_inst_pref_size 2
		.amdhsa_round_robin_scheduling 0
		.amdhsa_exception_fp_ieee_invalid_op 0
		.amdhsa_exception_fp_denorm_src 0
		.amdhsa_exception_fp_ieee_div_zero 0
		.amdhsa_exception_fp_ieee_overflow 0
		.amdhsa_exception_fp_ieee_underflow 0
		.amdhsa_exception_fp_ieee_inexact 0
		.amdhsa_exception_int_div_zero 0
	.end_amdhsa_kernel
	.section	.text._Z17warp_store_kernelILj256ELj8ELj64ELN6hipcub18WarpStoreAlgorithmE0EiEvPT3_,"axG",@progbits,_Z17warp_store_kernelILj256ELj8ELj64ELN6hipcub18WarpStoreAlgorithmE0EiEvPT3_,comdat
.Lfunc_end41:
	.size	_Z17warp_store_kernelILj256ELj8ELj64ELN6hipcub18WarpStoreAlgorithmE0EiEvPT3_, .Lfunc_end41-_Z17warp_store_kernelILj256ELj8ELj64ELN6hipcub18WarpStoreAlgorithmE0EiEvPT3_
                                        ; -- End function
	.set _Z17warp_store_kernelILj256ELj8ELj64ELN6hipcub18WarpStoreAlgorithmE0EiEvPT3_.num_vgpr, 10
	.set _Z17warp_store_kernelILj256ELj8ELj64ELN6hipcub18WarpStoreAlgorithmE0EiEvPT3_.num_agpr, 0
	.set _Z17warp_store_kernelILj256ELj8ELj64ELN6hipcub18WarpStoreAlgorithmE0EiEvPT3_.numbered_sgpr, 5
	.set _Z17warp_store_kernelILj256ELj8ELj64ELN6hipcub18WarpStoreAlgorithmE0EiEvPT3_.num_named_barrier, 0
	.set _Z17warp_store_kernelILj256ELj8ELj64ELN6hipcub18WarpStoreAlgorithmE0EiEvPT3_.private_seg_size, 0
	.set _Z17warp_store_kernelILj256ELj8ELj64ELN6hipcub18WarpStoreAlgorithmE0EiEvPT3_.uses_vcc, 0
	.set _Z17warp_store_kernelILj256ELj8ELj64ELN6hipcub18WarpStoreAlgorithmE0EiEvPT3_.uses_flat_scratch, 0
	.set _Z17warp_store_kernelILj256ELj8ELj64ELN6hipcub18WarpStoreAlgorithmE0EiEvPT3_.has_dyn_sized_stack, 0
	.set _Z17warp_store_kernelILj256ELj8ELj64ELN6hipcub18WarpStoreAlgorithmE0EiEvPT3_.has_recursion, 0
	.set _Z17warp_store_kernelILj256ELj8ELj64ELN6hipcub18WarpStoreAlgorithmE0EiEvPT3_.has_indirect_call, 0
	.section	.AMDGPU.csdata,"",@progbits
; Kernel info:
; codeLenInByte = 172
; TotalNumSgprs: 5
; NumVgprs: 10
; ScratchSize: 0
; MemoryBound: 0
; FloatMode: 240
; IeeeMode: 1
; LDSByteSize: 0 bytes/workgroup (compile time only)
; SGPRBlocks: 0
; VGPRBlocks: 0
; NumSGPRsForWavesPerEU: 5
; NumVGPRsForWavesPerEU: 10
; NamedBarCnt: 0
; Occupancy: 16
; WaveLimiterHint : 0
; COMPUTE_PGM_RSRC2:SCRATCH_EN: 0
; COMPUTE_PGM_RSRC2:USER_SGPR: 2
; COMPUTE_PGM_RSRC2:TRAP_HANDLER: 0
; COMPUTE_PGM_RSRC2:TGID_X_EN: 1
; COMPUTE_PGM_RSRC2:TGID_Y_EN: 0
; COMPUTE_PGM_RSRC2:TGID_Z_EN: 0
; COMPUTE_PGM_RSRC2:TIDIG_COMP_CNT: 0
	.section	.text._Z17warp_store_kernelILj256ELj8ELj64ELN6hipcub18WarpStoreAlgorithmE1EiEvPT3_,"axG",@progbits,_Z17warp_store_kernelILj256ELj8ELj64ELN6hipcub18WarpStoreAlgorithmE1EiEvPT3_,comdat
	.protected	_Z17warp_store_kernelILj256ELj8ELj64ELN6hipcub18WarpStoreAlgorithmE1EiEvPT3_ ; -- Begin function _Z17warp_store_kernelILj256ELj8ELj64ELN6hipcub18WarpStoreAlgorithmE1EiEvPT3_
	.globl	_Z17warp_store_kernelILj256ELj8ELj64ELN6hipcub18WarpStoreAlgorithmE1EiEvPT3_
	.p2align	8
	.type	_Z17warp_store_kernelILj256ELj8ELj64ELN6hipcub18WarpStoreAlgorithmE1EiEvPT3_,@function
_Z17warp_store_kernelILj256ELj8ELj64ELN6hipcub18WarpStoreAlgorithmE1EiEvPT3_: ; @_Z17warp_store_kernelILj256ELj8ELj64ELN6hipcub18WarpStoreAlgorithmE1EiEvPT3_
; %bb.0:
	s_load_b64 s[0:1], s[0:1], 0x0
	s_bfe_u32 s2, ttmp6, 0x4000c
	s_and_b32 s3, ttmp6, 15
	s_add_co_i32 s2, s2, 1
	s_getreg_b32 s4, hwreg(HW_REG_IB_STS2, 6, 4)
	s_mul_i32 s2, ttmp9, s2
	v_dual_mov_b32 v1, 0 :: v_dual_lshlrev_b32 v0, 3, v0
	s_add_co_i32 s3, s3, s2
	s_cmp_eq_u32 s4, 0
	v_mbcnt_lo_u32_b32 v4, -1, 0
	s_cselect_b32 s2, ttmp9, s3
	v_dual_mov_b32 v6, 4 :: v_dual_mov_b32 v7, 5
	s_lshl_b32 s2, s2, 11
	v_dual_mov_b32 v8, 6 :: v_dual_mov_b32 v9, 7
	v_and_or_b32 v0, 0x600, v0, s2
	v_mov_b32_e32 v5, 1
	s_wait_kmcnt 0x0
	s_delay_alu instid0(VALU_DEP_2) | instskip(SKIP_1) | instid1(VALU_DEP_1)
	v_lshl_add_u64 v[2:3], v[0:1], 2, s[0:1]
	v_dual_lshlrev_b32 v0, 2, v4 :: v_dual_mov_b32 v4, 3
	v_add_nc_u64_e32 v[2:3], v[2:3], v[0:1]
	v_mov_b32_e32 v0, 2
	s_clause 0x7
	global_store_b32 v[2:3], v1, off
	global_store_b32 v[2:3], v5, off offset:256
	global_store_b32 v[2:3], v0, off offset:512
	;; [unrolled: 1-line block ×7, first 2 shown]
	s_endpgm
	.section	.rodata,"a",@progbits
	.p2align	6, 0x0
	.amdhsa_kernel _Z17warp_store_kernelILj256ELj8ELj64ELN6hipcub18WarpStoreAlgorithmE1EiEvPT3_
		.amdhsa_group_segment_fixed_size 0
		.amdhsa_private_segment_fixed_size 0
		.amdhsa_kernarg_size 8
		.amdhsa_user_sgpr_count 2
		.amdhsa_user_sgpr_dispatch_ptr 0
		.amdhsa_user_sgpr_queue_ptr 0
		.amdhsa_user_sgpr_kernarg_segment_ptr 1
		.amdhsa_user_sgpr_dispatch_id 0
		.amdhsa_user_sgpr_kernarg_preload_length 0
		.amdhsa_user_sgpr_kernarg_preload_offset 0
		.amdhsa_user_sgpr_private_segment_size 0
		.amdhsa_wavefront_size32 1
		.amdhsa_uses_dynamic_stack 0
		.amdhsa_enable_private_segment 0
		.amdhsa_system_sgpr_workgroup_id_x 1
		.amdhsa_system_sgpr_workgroup_id_y 0
		.amdhsa_system_sgpr_workgroup_id_z 0
		.amdhsa_system_sgpr_workgroup_info 0
		.amdhsa_system_vgpr_workitem_id 0
		.amdhsa_next_free_vgpr 10
		.amdhsa_next_free_sgpr 5
		.amdhsa_named_barrier_count 0
		.amdhsa_reserve_vcc 0
		.amdhsa_float_round_mode_32 0
		.amdhsa_float_round_mode_16_64 0
		.amdhsa_float_denorm_mode_32 3
		.amdhsa_float_denorm_mode_16_64 3
		.amdhsa_fp16_overflow 0
		.amdhsa_memory_ordered 1
		.amdhsa_forward_progress 1
		.amdhsa_inst_pref_size 2
		.amdhsa_round_robin_scheduling 0
		.amdhsa_exception_fp_ieee_invalid_op 0
		.amdhsa_exception_fp_denorm_src 0
		.amdhsa_exception_fp_ieee_div_zero 0
		.amdhsa_exception_fp_ieee_overflow 0
		.amdhsa_exception_fp_ieee_underflow 0
		.amdhsa_exception_fp_ieee_inexact 0
		.amdhsa_exception_int_div_zero 0
	.end_amdhsa_kernel
	.section	.text._Z17warp_store_kernelILj256ELj8ELj64ELN6hipcub18WarpStoreAlgorithmE1EiEvPT3_,"axG",@progbits,_Z17warp_store_kernelILj256ELj8ELj64ELN6hipcub18WarpStoreAlgorithmE1EiEvPT3_,comdat
.Lfunc_end42:
	.size	_Z17warp_store_kernelILj256ELj8ELj64ELN6hipcub18WarpStoreAlgorithmE1EiEvPT3_, .Lfunc_end42-_Z17warp_store_kernelILj256ELj8ELj64ELN6hipcub18WarpStoreAlgorithmE1EiEvPT3_
                                        ; -- End function
	.set _Z17warp_store_kernelILj256ELj8ELj64ELN6hipcub18WarpStoreAlgorithmE1EiEvPT3_.num_vgpr, 10
	.set _Z17warp_store_kernelILj256ELj8ELj64ELN6hipcub18WarpStoreAlgorithmE1EiEvPT3_.num_agpr, 0
	.set _Z17warp_store_kernelILj256ELj8ELj64ELN6hipcub18WarpStoreAlgorithmE1EiEvPT3_.numbered_sgpr, 5
	.set _Z17warp_store_kernelILj256ELj8ELj64ELN6hipcub18WarpStoreAlgorithmE1EiEvPT3_.num_named_barrier, 0
	.set _Z17warp_store_kernelILj256ELj8ELj64ELN6hipcub18WarpStoreAlgorithmE1EiEvPT3_.private_seg_size, 0
	.set _Z17warp_store_kernelILj256ELj8ELj64ELN6hipcub18WarpStoreAlgorithmE1EiEvPT3_.uses_vcc, 0
	.set _Z17warp_store_kernelILj256ELj8ELj64ELN6hipcub18WarpStoreAlgorithmE1EiEvPT3_.uses_flat_scratch, 0
	.set _Z17warp_store_kernelILj256ELj8ELj64ELN6hipcub18WarpStoreAlgorithmE1EiEvPT3_.has_dyn_sized_stack, 0
	.set _Z17warp_store_kernelILj256ELj8ELj64ELN6hipcub18WarpStoreAlgorithmE1EiEvPT3_.has_recursion, 0
	.set _Z17warp_store_kernelILj256ELj8ELj64ELN6hipcub18WarpStoreAlgorithmE1EiEvPT3_.has_indirect_call, 0
	.section	.AMDGPU.csdata,"",@progbits
; Kernel info:
; codeLenInByte = 236
; TotalNumSgprs: 5
; NumVgprs: 10
; ScratchSize: 0
; MemoryBound: 0
; FloatMode: 240
; IeeeMode: 1
; LDSByteSize: 0 bytes/workgroup (compile time only)
; SGPRBlocks: 0
; VGPRBlocks: 0
; NumSGPRsForWavesPerEU: 5
; NumVGPRsForWavesPerEU: 10
; NamedBarCnt: 0
; Occupancy: 16
; WaveLimiterHint : 1
; COMPUTE_PGM_RSRC2:SCRATCH_EN: 0
; COMPUTE_PGM_RSRC2:USER_SGPR: 2
; COMPUTE_PGM_RSRC2:TRAP_HANDLER: 0
; COMPUTE_PGM_RSRC2:TGID_X_EN: 1
; COMPUTE_PGM_RSRC2:TGID_Y_EN: 0
; COMPUTE_PGM_RSRC2:TGID_Z_EN: 0
; COMPUTE_PGM_RSRC2:TIDIG_COMP_CNT: 0
	.section	.text._Z17warp_store_kernelILj256ELj8ELj64ELN6hipcub18WarpStoreAlgorithmE2EiEvPT3_,"axG",@progbits,_Z17warp_store_kernelILj256ELj8ELj64ELN6hipcub18WarpStoreAlgorithmE2EiEvPT3_,comdat
	.protected	_Z17warp_store_kernelILj256ELj8ELj64ELN6hipcub18WarpStoreAlgorithmE2EiEvPT3_ ; -- Begin function _Z17warp_store_kernelILj256ELj8ELj64ELN6hipcub18WarpStoreAlgorithmE2EiEvPT3_
	.globl	_Z17warp_store_kernelILj256ELj8ELj64ELN6hipcub18WarpStoreAlgorithmE2EiEvPT3_
	.p2align	8
	.type	_Z17warp_store_kernelILj256ELj8ELj64ELN6hipcub18WarpStoreAlgorithmE2EiEvPT3_,@function
_Z17warp_store_kernelILj256ELj8ELj64ELN6hipcub18WarpStoreAlgorithmE2EiEvPT3_: ; @_Z17warp_store_kernelILj256ELj8ELj64ELN6hipcub18WarpStoreAlgorithmE2EiEvPT3_
; %bb.0:
	s_load_b64 s[0:1], s[0:1], 0x0
	s_bfe_u32 s2, ttmp6, 0x4000c
	s_and_b32 s3, ttmp6, 15
	s_add_co_i32 s2, s2, 1
	s_getreg_b32 s4, hwreg(HW_REG_IB_STS2, 6, 4)
	s_mul_i32 s2, ttmp9, s2
	v_dual_mov_b32 v7, 0 :: v_dual_lshlrev_b32 v0, 3, v0
	s_add_co_i32 s3, s3, s2
	s_cmp_eq_u32 s4, 0
	v_dual_mov_b32 v2, 2 :: v_dual_mov_b32 v3, 3
	s_cselect_b32 s2, ttmp9, s3
	v_dual_mov_b32 v4, 4 :: v_dual_mov_b32 v5, 5
	s_lshl_b32 s2, s2, 11
	s_delay_alu instid0(SALU_CYCLE_1) | instskip(SKIP_3) | instid1(VALU_DEP_3)
	v_and_or_b32 v6, 0x600, v0, s2
	v_mbcnt_lo_u32_b32 v0, -1, 0
	v_mov_b32_e32 v1, 1
	s_wait_kmcnt 0x0
	v_lshl_add_u64 v[8:9], v[6:7], 2, s[0:1]
	s_delay_alu instid0(VALU_DEP_3) | instskip(NEXT) | instid1(VALU_DEP_1)
	v_dual_lshlrev_b32 v6, 5, v0 :: v_dual_mov_b32 v0, v7
	v_add_nc_u64_e32 v[8:9], v[8:9], v[6:7]
	v_dual_mov_b32 v6, 6 :: v_dual_mov_b32 v7, 7
	s_clause 0x1
	global_store_b128 v[8:9], v[0:3], off
	global_store_b128 v[8:9], v[4:7], off offset:16
	s_endpgm
	.section	.rodata,"a",@progbits
	.p2align	6, 0x0
	.amdhsa_kernel _Z17warp_store_kernelILj256ELj8ELj64ELN6hipcub18WarpStoreAlgorithmE2EiEvPT3_
		.amdhsa_group_segment_fixed_size 0
		.amdhsa_private_segment_fixed_size 0
		.amdhsa_kernarg_size 8
		.amdhsa_user_sgpr_count 2
		.amdhsa_user_sgpr_dispatch_ptr 0
		.amdhsa_user_sgpr_queue_ptr 0
		.amdhsa_user_sgpr_kernarg_segment_ptr 1
		.amdhsa_user_sgpr_dispatch_id 0
		.amdhsa_user_sgpr_kernarg_preload_length 0
		.amdhsa_user_sgpr_kernarg_preload_offset 0
		.amdhsa_user_sgpr_private_segment_size 0
		.amdhsa_wavefront_size32 1
		.amdhsa_uses_dynamic_stack 0
		.amdhsa_enable_private_segment 0
		.amdhsa_system_sgpr_workgroup_id_x 1
		.amdhsa_system_sgpr_workgroup_id_y 0
		.amdhsa_system_sgpr_workgroup_id_z 0
		.amdhsa_system_sgpr_workgroup_info 0
		.amdhsa_system_vgpr_workitem_id 0
		.amdhsa_next_free_vgpr 10
		.amdhsa_next_free_sgpr 5
		.amdhsa_named_barrier_count 0
		.amdhsa_reserve_vcc 0
		.amdhsa_float_round_mode_32 0
		.amdhsa_float_round_mode_16_64 0
		.amdhsa_float_denorm_mode_32 3
		.amdhsa_float_denorm_mode_16_64 3
		.amdhsa_fp16_overflow 0
		.amdhsa_memory_ordered 1
		.amdhsa_forward_progress 1
		.amdhsa_inst_pref_size 2
		.amdhsa_round_robin_scheduling 0
		.amdhsa_exception_fp_ieee_invalid_op 0
		.amdhsa_exception_fp_denorm_src 0
		.amdhsa_exception_fp_ieee_div_zero 0
		.amdhsa_exception_fp_ieee_overflow 0
		.amdhsa_exception_fp_ieee_underflow 0
		.amdhsa_exception_fp_ieee_inexact 0
		.amdhsa_exception_int_div_zero 0
	.end_amdhsa_kernel
	.section	.text._Z17warp_store_kernelILj256ELj8ELj64ELN6hipcub18WarpStoreAlgorithmE2EiEvPT3_,"axG",@progbits,_Z17warp_store_kernelILj256ELj8ELj64ELN6hipcub18WarpStoreAlgorithmE2EiEvPT3_,comdat
.Lfunc_end43:
	.size	_Z17warp_store_kernelILj256ELj8ELj64ELN6hipcub18WarpStoreAlgorithmE2EiEvPT3_, .Lfunc_end43-_Z17warp_store_kernelILj256ELj8ELj64ELN6hipcub18WarpStoreAlgorithmE2EiEvPT3_
                                        ; -- End function
	.set _Z17warp_store_kernelILj256ELj8ELj64ELN6hipcub18WarpStoreAlgorithmE2EiEvPT3_.num_vgpr, 10
	.set _Z17warp_store_kernelILj256ELj8ELj64ELN6hipcub18WarpStoreAlgorithmE2EiEvPT3_.num_agpr, 0
	.set _Z17warp_store_kernelILj256ELj8ELj64ELN6hipcub18WarpStoreAlgorithmE2EiEvPT3_.numbered_sgpr, 5
	.set _Z17warp_store_kernelILj256ELj8ELj64ELN6hipcub18WarpStoreAlgorithmE2EiEvPT3_.num_named_barrier, 0
	.set _Z17warp_store_kernelILj256ELj8ELj64ELN6hipcub18WarpStoreAlgorithmE2EiEvPT3_.private_seg_size, 0
	.set _Z17warp_store_kernelILj256ELj8ELj64ELN6hipcub18WarpStoreAlgorithmE2EiEvPT3_.uses_vcc, 0
	.set _Z17warp_store_kernelILj256ELj8ELj64ELN6hipcub18WarpStoreAlgorithmE2EiEvPT3_.uses_flat_scratch, 0
	.set _Z17warp_store_kernelILj256ELj8ELj64ELN6hipcub18WarpStoreAlgorithmE2EiEvPT3_.has_dyn_sized_stack, 0
	.set _Z17warp_store_kernelILj256ELj8ELj64ELN6hipcub18WarpStoreAlgorithmE2EiEvPT3_.has_recursion, 0
	.set _Z17warp_store_kernelILj256ELj8ELj64ELN6hipcub18WarpStoreAlgorithmE2EiEvPT3_.has_indirect_call, 0
	.section	.AMDGPU.csdata,"",@progbits
; Kernel info:
; codeLenInByte = 172
; TotalNumSgprs: 5
; NumVgprs: 10
; ScratchSize: 0
; MemoryBound: 0
; FloatMode: 240
; IeeeMode: 1
; LDSByteSize: 0 bytes/workgroup (compile time only)
; SGPRBlocks: 0
; VGPRBlocks: 0
; NumSGPRsForWavesPerEU: 5
; NumVGPRsForWavesPerEU: 10
; NamedBarCnt: 0
; Occupancy: 16
; WaveLimiterHint : 0
; COMPUTE_PGM_RSRC2:SCRATCH_EN: 0
; COMPUTE_PGM_RSRC2:USER_SGPR: 2
; COMPUTE_PGM_RSRC2:TRAP_HANDLER: 0
; COMPUTE_PGM_RSRC2:TGID_X_EN: 1
; COMPUTE_PGM_RSRC2:TGID_Y_EN: 0
; COMPUTE_PGM_RSRC2:TGID_Z_EN: 0
; COMPUTE_PGM_RSRC2:TIDIG_COMP_CNT: 0
	.section	.text._Z17warp_store_kernelILj256ELj8ELj64ELN6hipcub18WarpStoreAlgorithmE3EiEvPT3_,"axG",@progbits,_Z17warp_store_kernelILj256ELj8ELj64ELN6hipcub18WarpStoreAlgorithmE3EiEvPT3_,comdat
	.protected	_Z17warp_store_kernelILj256ELj8ELj64ELN6hipcub18WarpStoreAlgorithmE3EiEvPT3_ ; -- Begin function _Z17warp_store_kernelILj256ELj8ELj64ELN6hipcub18WarpStoreAlgorithmE3EiEvPT3_
	.globl	_Z17warp_store_kernelILj256ELj8ELj64ELN6hipcub18WarpStoreAlgorithmE3EiEvPT3_
	.p2align	8
	.type	_Z17warp_store_kernelILj256ELj8ELj64ELN6hipcub18WarpStoreAlgorithmE3EiEvPT3_,@function
_Z17warp_store_kernelILj256ELj8ELj64ELN6hipcub18WarpStoreAlgorithmE3EiEvPT3_: ; @_Z17warp_store_kernelILj256ELj8ELj64ELN6hipcub18WarpStoreAlgorithmE3EiEvPT3_
; %bb.0:
	s_load_b64 s[0:1], s[0:1], 0x0
	s_bfe_u32 s2, ttmp6, 0x4000c
	s_and_b32 s3, ttmp6, 15
	s_add_co_i32 s2, s2, 1
	s_getreg_b32 s4, hwreg(HW_REG_IB_STS2, 6, 4)
	s_mul_i32 s2, ttmp9, s2
	v_dual_mov_b32 v9, 0 :: v_dual_lshrrev_b32 v0, 6, v0
	s_add_co_i32 s3, s3, s2
	s_cmp_eq_u32 s4, 0
	v_mbcnt_lo_u32_b32 v6, -1, 0
	s_cselect_b32 s2, ttmp9, s3
	v_dual_mov_b32 v1, 1 :: v_dual_lshlrev_b32 v12, 11, v0
	s_lshl_b32 s2, s2, 11
	v_mov_b32_e32 v5, 5
	v_lshl_or_b32 v8, v0, 9, s2
	v_dual_mov_b32 v2, 2 :: v_dual_mov_b32 v3, 3
	v_dual_mov_b32 v0, v9 :: v_dual_mov_b32 v4, 4
	s_wait_kmcnt 0x0
	s_delay_alu instid0(VALU_DEP_3)
	v_lshl_add_u64 v[10:11], v[8:9], 2, s[0:1]
	v_lshlrev_b32_e32 v8, 2, v6
	v_lshl_or_b32 v13, v6, 5, v12
	v_dual_mov_b32 v6, 6 :: v_dual_mov_b32 v7, 7
	ds_store_b128 v13, v[0:3]
	ds_store_b128 v13, v[4:7] offset:16
	v_or_b32_e32 v12, v12, v8
	; wave barrier
	ds_load_2addr_stride64_b32 v[0:1], v12 offset1:1
	ds_load_2addr_stride64_b32 v[2:3], v12 offset0:2 offset1:3
	ds_load_2addr_stride64_b32 v[4:5], v12 offset0:4 offset1:5
	;; [unrolled: 1-line block ×3, first 2 shown]
	v_add_nc_u64_e32 v[8:9], v[10:11], v[8:9]
	s_wait_dscnt 0x3
	s_clause 0x1
	global_store_b32 v[8:9], v0, off
	global_store_b32 v[8:9], v1, off offset:256
	s_wait_dscnt 0x2
	s_clause 0x1
	global_store_b32 v[8:9], v2, off offset:512
	global_store_b32 v[8:9], v3, off offset:768
	s_wait_dscnt 0x1
	s_clause 0x1
	global_store_b32 v[8:9], v4, off offset:1024
	;; [unrolled: 4-line block ×3, first 2 shown]
	global_store_b32 v[8:9], v7, off offset:1792
	s_endpgm
	.section	.rodata,"a",@progbits
	.p2align	6, 0x0
	.amdhsa_kernel _Z17warp_store_kernelILj256ELj8ELj64ELN6hipcub18WarpStoreAlgorithmE3EiEvPT3_
		.amdhsa_group_segment_fixed_size 8192
		.amdhsa_private_segment_fixed_size 0
		.amdhsa_kernarg_size 8
		.amdhsa_user_sgpr_count 2
		.amdhsa_user_sgpr_dispatch_ptr 0
		.amdhsa_user_sgpr_queue_ptr 0
		.amdhsa_user_sgpr_kernarg_segment_ptr 1
		.amdhsa_user_sgpr_dispatch_id 0
		.amdhsa_user_sgpr_kernarg_preload_length 0
		.amdhsa_user_sgpr_kernarg_preload_offset 0
		.amdhsa_user_sgpr_private_segment_size 0
		.amdhsa_wavefront_size32 1
		.amdhsa_uses_dynamic_stack 0
		.amdhsa_enable_private_segment 0
		.amdhsa_system_sgpr_workgroup_id_x 1
		.amdhsa_system_sgpr_workgroup_id_y 0
		.amdhsa_system_sgpr_workgroup_id_z 0
		.amdhsa_system_sgpr_workgroup_info 0
		.amdhsa_system_vgpr_workitem_id 0
		.amdhsa_next_free_vgpr 14
		.amdhsa_next_free_sgpr 5
		.amdhsa_named_barrier_count 0
		.amdhsa_reserve_vcc 0
		.amdhsa_float_round_mode_32 0
		.amdhsa_float_round_mode_16_64 0
		.amdhsa_float_denorm_mode_32 3
		.amdhsa_float_denorm_mode_16_64 3
		.amdhsa_fp16_overflow 0
		.amdhsa_memory_ordered 1
		.amdhsa_forward_progress 1
		.amdhsa_inst_pref_size 3
		.amdhsa_round_robin_scheduling 0
		.amdhsa_exception_fp_ieee_invalid_op 0
		.amdhsa_exception_fp_denorm_src 0
		.amdhsa_exception_fp_ieee_div_zero 0
		.amdhsa_exception_fp_ieee_overflow 0
		.amdhsa_exception_fp_ieee_underflow 0
		.amdhsa_exception_fp_ieee_inexact 0
		.amdhsa_exception_int_div_zero 0
	.end_amdhsa_kernel
	.section	.text._Z17warp_store_kernelILj256ELj8ELj64ELN6hipcub18WarpStoreAlgorithmE3EiEvPT3_,"axG",@progbits,_Z17warp_store_kernelILj256ELj8ELj64ELN6hipcub18WarpStoreAlgorithmE3EiEvPT3_,comdat
.Lfunc_end44:
	.size	_Z17warp_store_kernelILj256ELj8ELj64ELN6hipcub18WarpStoreAlgorithmE3EiEvPT3_, .Lfunc_end44-_Z17warp_store_kernelILj256ELj8ELj64ELN6hipcub18WarpStoreAlgorithmE3EiEvPT3_
                                        ; -- End function
	.set _Z17warp_store_kernelILj256ELj8ELj64ELN6hipcub18WarpStoreAlgorithmE3EiEvPT3_.num_vgpr, 14
	.set _Z17warp_store_kernelILj256ELj8ELj64ELN6hipcub18WarpStoreAlgorithmE3EiEvPT3_.num_agpr, 0
	.set _Z17warp_store_kernelILj256ELj8ELj64ELN6hipcub18WarpStoreAlgorithmE3EiEvPT3_.numbered_sgpr, 5
	.set _Z17warp_store_kernelILj256ELj8ELj64ELN6hipcub18WarpStoreAlgorithmE3EiEvPT3_.num_named_barrier, 0
	.set _Z17warp_store_kernelILj256ELj8ELj64ELN6hipcub18WarpStoreAlgorithmE3EiEvPT3_.private_seg_size, 0
	.set _Z17warp_store_kernelILj256ELj8ELj64ELN6hipcub18WarpStoreAlgorithmE3EiEvPT3_.uses_vcc, 0
	.set _Z17warp_store_kernelILj256ELj8ELj64ELN6hipcub18WarpStoreAlgorithmE3EiEvPT3_.uses_flat_scratch, 0
	.set _Z17warp_store_kernelILj256ELj8ELj64ELN6hipcub18WarpStoreAlgorithmE3EiEvPT3_.has_dyn_sized_stack, 0
	.set _Z17warp_store_kernelILj256ELj8ELj64ELN6hipcub18WarpStoreAlgorithmE3EiEvPT3_.has_recursion, 0
	.set _Z17warp_store_kernelILj256ELj8ELj64ELN6hipcub18WarpStoreAlgorithmE3EiEvPT3_.has_indirect_call, 0
	.section	.AMDGPU.csdata,"",@progbits
; Kernel info:
; codeLenInByte = 328
; TotalNumSgprs: 5
; NumVgprs: 14
; ScratchSize: 0
; MemoryBound: 1
; FloatMode: 240
; IeeeMode: 1
; LDSByteSize: 8192 bytes/workgroup (compile time only)
; SGPRBlocks: 0
; VGPRBlocks: 0
; NumSGPRsForWavesPerEU: 5
; NumVGPRsForWavesPerEU: 14
; NamedBarCnt: 0
; Occupancy: 16
; WaveLimiterHint : 1
; COMPUTE_PGM_RSRC2:SCRATCH_EN: 0
; COMPUTE_PGM_RSRC2:USER_SGPR: 2
; COMPUTE_PGM_RSRC2:TRAP_HANDLER: 0
; COMPUTE_PGM_RSRC2:TGID_X_EN: 1
; COMPUTE_PGM_RSRC2:TGID_Y_EN: 0
; COMPUTE_PGM_RSRC2:TGID_Z_EN: 0
; COMPUTE_PGM_RSRC2:TIDIG_COMP_CNT: 0
	.section	.text._Z17warp_store_kernelILj256ELj16ELj64ELN6hipcub18WarpStoreAlgorithmE0EiEvPT3_,"axG",@progbits,_Z17warp_store_kernelILj256ELj16ELj64ELN6hipcub18WarpStoreAlgorithmE0EiEvPT3_,comdat
	.protected	_Z17warp_store_kernelILj256ELj16ELj64ELN6hipcub18WarpStoreAlgorithmE0EiEvPT3_ ; -- Begin function _Z17warp_store_kernelILj256ELj16ELj64ELN6hipcub18WarpStoreAlgorithmE0EiEvPT3_
	.globl	_Z17warp_store_kernelILj256ELj16ELj64ELN6hipcub18WarpStoreAlgorithmE0EiEvPT3_
	.p2align	8
	.type	_Z17warp_store_kernelILj256ELj16ELj64ELN6hipcub18WarpStoreAlgorithmE0EiEvPT3_,@function
_Z17warp_store_kernelILj256ELj16ELj64ELN6hipcub18WarpStoreAlgorithmE0EiEvPT3_: ; @_Z17warp_store_kernelILj256ELj16ELj64ELN6hipcub18WarpStoreAlgorithmE0EiEvPT3_
; %bb.0:
	s_load_b64 s[0:1], s[0:1], 0x0
	s_bfe_u32 s2, ttmp6, 0x4000c
	s_and_b32 s3, ttmp6, 15
	s_add_co_i32 s2, s2, 1
	s_getreg_b32 s4, hwreg(HW_REG_IB_STS2, 6, 4)
	s_mul_i32 s2, ttmp9, s2
	v_dual_mov_b32 v11, 0 :: v_dual_lshlrev_b32 v0, 4, v0
	s_add_co_i32 s3, s3, s2
	s_cmp_eq_u32 s4, 0
	v_mbcnt_lo_u32_b32 v6, -1, 0
	s_cselect_b32 s2, ttmp9, s3
	v_mov_b32_e32 v5, 5
	s_lshl_b32 s2, s2, 12
	v_dual_mov_b32 v1, 1 :: v_dual_mov_b32 v2, 2
	v_and_or_b32 v10, 0xc00, v0, s2
	v_dual_mov_b32 v3, 3 :: v_dual_mov_b32 v4, 4
	v_dual_mov_b32 v8, 8 :: v_dual_mov_b32 v0, v11
	s_wait_kmcnt 0x0
	s_delay_alu instid0(VALU_DEP_3) | instskip(SKIP_3) | instid1(VALU_DEP_3)
	v_lshl_add_u64 v[12:13], v[10:11], 2, s[0:1]
	v_dual_lshlrev_b32 v10, 6, v6 :: v_dual_mov_b32 v6, 6
	v_dual_mov_b32 v7, 7 :: v_dual_mov_b32 v9, 9
	v_mov_b32_e32 v14, 14
	v_add_nc_u64_e32 v[16:17], v[12:13], v[10:11]
	v_dual_mov_b32 v10, 10 :: v_dual_mov_b32 v11, 11
	v_dual_mov_b32 v12, 12 :: v_dual_mov_b32 v13, 13
	v_mov_b32_e32 v15, 15
	s_clause 0x3
	global_store_b128 v[16:17], v[0:3], off
	global_store_b128 v[16:17], v[4:7], off offset:16
	global_store_b128 v[16:17], v[8:11], off offset:32
	global_store_b128 v[16:17], v[12:15], off offset:48
	s_endpgm
	.section	.rodata,"a",@progbits
	.p2align	6, 0x0
	.amdhsa_kernel _Z17warp_store_kernelILj256ELj16ELj64ELN6hipcub18WarpStoreAlgorithmE0EiEvPT3_
		.amdhsa_group_segment_fixed_size 0
		.amdhsa_private_segment_fixed_size 0
		.amdhsa_kernarg_size 8
		.amdhsa_user_sgpr_count 2
		.amdhsa_user_sgpr_dispatch_ptr 0
		.amdhsa_user_sgpr_queue_ptr 0
		.amdhsa_user_sgpr_kernarg_segment_ptr 1
		.amdhsa_user_sgpr_dispatch_id 0
		.amdhsa_user_sgpr_kernarg_preload_length 0
		.amdhsa_user_sgpr_kernarg_preload_offset 0
		.amdhsa_user_sgpr_private_segment_size 0
		.amdhsa_wavefront_size32 1
		.amdhsa_uses_dynamic_stack 0
		.amdhsa_enable_private_segment 0
		.amdhsa_system_sgpr_workgroup_id_x 1
		.amdhsa_system_sgpr_workgroup_id_y 0
		.amdhsa_system_sgpr_workgroup_id_z 0
		.amdhsa_system_sgpr_workgroup_info 0
		.amdhsa_system_vgpr_workitem_id 0
		.amdhsa_next_free_vgpr 18
		.amdhsa_next_free_sgpr 5
		.amdhsa_named_barrier_count 0
		.amdhsa_reserve_vcc 0
		.amdhsa_float_round_mode_32 0
		.amdhsa_float_round_mode_16_64 0
		.amdhsa_float_denorm_mode_32 3
		.amdhsa_float_denorm_mode_16_64 3
		.amdhsa_fp16_overflow 0
		.amdhsa_memory_ordered 1
		.amdhsa_forward_progress 1
		.amdhsa_inst_pref_size 2
		.amdhsa_round_robin_scheduling 0
		.amdhsa_exception_fp_ieee_invalid_op 0
		.amdhsa_exception_fp_denorm_src 0
		.amdhsa_exception_fp_ieee_div_zero 0
		.amdhsa_exception_fp_ieee_overflow 0
		.amdhsa_exception_fp_ieee_underflow 0
		.amdhsa_exception_fp_ieee_inexact 0
		.amdhsa_exception_int_div_zero 0
	.end_amdhsa_kernel
	.section	.text._Z17warp_store_kernelILj256ELj16ELj64ELN6hipcub18WarpStoreAlgorithmE0EiEvPT3_,"axG",@progbits,_Z17warp_store_kernelILj256ELj16ELj64ELN6hipcub18WarpStoreAlgorithmE0EiEvPT3_,comdat
.Lfunc_end45:
	.size	_Z17warp_store_kernelILj256ELj16ELj64ELN6hipcub18WarpStoreAlgorithmE0EiEvPT3_, .Lfunc_end45-_Z17warp_store_kernelILj256ELj16ELj64ELN6hipcub18WarpStoreAlgorithmE0EiEvPT3_
                                        ; -- End function
	.set _Z17warp_store_kernelILj256ELj16ELj64ELN6hipcub18WarpStoreAlgorithmE0EiEvPT3_.num_vgpr, 18
	.set _Z17warp_store_kernelILj256ELj16ELj64ELN6hipcub18WarpStoreAlgorithmE0EiEvPT3_.num_agpr, 0
	.set _Z17warp_store_kernelILj256ELj16ELj64ELN6hipcub18WarpStoreAlgorithmE0EiEvPT3_.numbered_sgpr, 5
	.set _Z17warp_store_kernelILj256ELj16ELj64ELN6hipcub18WarpStoreAlgorithmE0EiEvPT3_.num_named_barrier, 0
	.set _Z17warp_store_kernelILj256ELj16ELj64ELN6hipcub18WarpStoreAlgorithmE0EiEvPT3_.private_seg_size, 0
	.set _Z17warp_store_kernelILj256ELj16ELj64ELN6hipcub18WarpStoreAlgorithmE0EiEvPT3_.uses_vcc, 0
	.set _Z17warp_store_kernelILj256ELj16ELj64ELN6hipcub18WarpStoreAlgorithmE0EiEvPT3_.uses_flat_scratch, 0
	.set _Z17warp_store_kernelILj256ELj16ELj64ELN6hipcub18WarpStoreAlgorithmE0EiEvPT3_.has_dyn_sized_stack, 0
	.set _Z17warp_store_kernelILj256ELj16ELj64ELN6hipcub18WarpStoreAlgorithmE0EiEvPT3_.has_recursion, 0
	.set _Z17warp_store_kernelILj256ELj16ELj64ELN6hipcub18WarpStoreAlgorithmE0EiEvPT3_.has_indirect_call, 0
	.section	.AMDGPU.csdata,"",@progbits
; Kernel info:
; codeLenInByte = 232
; TotalNumSgprs: 5
; NumVgprs: 18
; ScratchSize: 0
; MemoryBound: 1
; FloatMode: 240
; IeeeMode: 1
; LDSByteSize: 0 bytes/workgroup (compile time only)
; SGPRBlocks: 0
; VGPRBlocks: 1
; NumSGPRsForWavesPerEU: 5
; NumVGPRsForWavesPerEU: 18
; NamedBarCnt: 0
; Occupancy: 16
; WaveLimiterHint : 1
; COMPUTE_PGM_RSRC2:SCRATCH_EN: 0
; COMPUTE_PGM_RSRC2:USER_SGPR: 2
; COMPUTE_PGM_RSRC2:TRAP_HANDLER: 0
; COMPUTE_PGM_RSRC2:TGID_X_EN: 1
; COMPUTE_PGM_RSRC2:TGID_Y_EN: 0
; COMPUTE_PGM_RSRC2:TGID_Z_EN: 0
; COMPUTE_PGM_RSRC2:TIDIG_COMP_CNT: 0
	.section	.text._Z17warp_store_kernelILj256ELj16ELj64ELN6hipcub18WarpStoreAlgorithmE1EiEvPT3_,"axG",@progbits,_Z17warp_store_kernelILj256ELj16ELj64ELN6hipcub18WarpStoreAlgorithmE1EiEvPT3_,comdat
	.protected	_Z17warp_store_kernelILj256ELj16ELj64ELN6hipcub18WarpStoreAlgorithmE1EiEvPT3_ ; -- Begin function _Z17warp_store_kernelILj256ELj16ELj64ELN6hipcub18WarpStoreAlgorithmE1EiEvPT3_
	.globl	_Z17warp_store_kernelILj256ELj16ELj64ELN6hipcub18WarpStoreAlgorithmE1EiEvPT3_
	.p2align	8
	.type	_Z17warp_store_kernelILj256ELj16ELj64ELN6hipcub18WarpStoreAlgorithmE1EiEvPT3_,@function
_Z17warp_store_kernelILj256ELj16ELj64ELN6hipcub18WarpStoreAlgorithmE1EiEvPT3_: ; @_Z17warp_store_kernelILj256ELj16ELj64ELN6hipcub18WarpStoreAlgorithmE1EiEvPT3_
; %bb.0:
	s_load_b64 s[0:1], s[0:1], 0x0
	s_bfe_u32 s2, ttmp6, 0x4000c
	s_and_b32 s3, ttmp6, 15
	s_add_co_i32 s2, s2, 1
	s_getreg_b32 s4, hwreg(HW_REG_IB_STS2, 6, 4)
	s_mul_i32 s2, ttmp9, s2
	v_dual_mov_b32 v1, 0 :: v_dual_lshlrev_b32 v0, 4, v0
	s_add_co_i32 s3, s3, s2
	s_cmp_eq_u32 s4, 0
	v_mbcnt_lo_u32_b32 v4, -1, 0
	s_cselect_b32 s2, ttmp9, s3
	v_mov_b32_e32 v5, 2
	s_lshl_b32 s2, s2, 12
	v_dual_mov_b32 v6, 3 :: v_dual_mov_b32 v7, 5
	v_and_or_b32 v0, 0xc00, v0, s2
	v_dual_mov_b32 v10, 8 :: v_dual_mov_b32 v8, 6
	v_mov_b32_e32 v9, 7
	s_wait_kmcnt 0x0
	s_delay_alu instid0(VALU_DEP_3) | instskip(SKIP_1) | instid1(VALU_DEP_1)
	v_lshl_add_u64 v[2:3], v[0:1], 2, s[0:1]
	v_dual_lshlrev_b32 v0, 2, v4 :: v_dual_mov_b32 v4, 4
	v_add_nc_u64_e32 v[2:3], v[2:3], v[0:1]
	v_mov_b32_e32 v0, 1
	s_clause 0x7
	global_store_b32 v[2:3], v1, off
	global_store_b32 v[2:3], v0, off offset:256
	global_store_b32 v[2:3], v5, off offset:512
	;; [unrolled: 1-line block ×7, first 2 shown]
	s_wait_xcnt 0x6
	v_dual_mov_b32 v0, 9 :: v_dual_mov_b32 v1, 10
	s_wait_xcnt 0x3
	v_dual_mov_b32 v4, 11 :: v_dual_mov_b32 v5, 12
	;; [unrolled: 2-line block ×3, first 2 shown]
	s_wait_xcnt 0x1
	v_mov_b32_e32 v8, 15
	s_clause 0x7
	global_store_b32 v[2:3], v10, off offset:2048
	global_store_b32 v[2:3], v0, off offset:2304
	;; [unrolled: 1-line block ×8, first 2 shown]
	s_endpgm
	.section	.rodata,"a",@progbits
	.p2align	6, 0x0
	.amdhsa_kernel _Z17warp_store_kernelILj256ELj16ELj64ELN6hipcub18WarpStoreAlgorithmE1EiEvPT3_
		.amdhsa_group_segment_fixed_size 0
		.amdhsa_private_segment_fixed_size 0
		.amdhsa_kernarg_size 8
		.amdhsa_user_sgpr_count 2
		.amdhsa_user_sgpr_dispatch_ptr 0
		.amdhsa_user_sgpr_queue_ptr 0
		.amdhsa_user_sgpr_kernarg_segment_ptr 1
		.amdhsa_user_sgpr_dispatch_id 0
		.amdhsa_user_sgpr_kernarg_preload_length 0
		.amdhsa_user_sgpr_kernarg_preload_offset 0
		.amdhsa_user_sgpr_private_segment_size 0
		.amdhsa_wavefront_size32 1
		.amdhsa_uses_dynamic_stack 0
		.amdhsa_enable_private_segment 0
		.amdhsa_system_sgpr_workgroup_id_x 1
		.amdhsa_system_sgpr_workgroup_id_y 0
		.amdhsa_system_sgpr_workgroup_id_z 0
		.amdhsa_system_sgpr_workgroup_info 0
		.amdhsa_system_vgpr_workitem_id 0
		.amdhsa_next_free_vgpr 11
		.amdhsa_next_free_sgpr 5
		.amdhsa_named_barrier_count 0
		.amdhsa_reserve_vcc 0
		.amdhsa_float_round_mode_32 0
		.amdhsa_float_round_mode_16_64 0
		.amdhsa_float_denorm_mode_32 3
		.amdhsa_float_denorm_mode_16_64 3
		.amdhsa_fp16_overflow 0
		.amdhsa_memory_ordered 1
		.amdhsa_forward_progress 1
		.amdhsa_inst_pref_size 4
		.amdhsa_round_robin_scheduling 0
		.amdhsa_exception_fp_ieee_invalid_op 0
		.amdhsa_exception_fp_denorm_src 0
		.amdhsa_exception_fp_ieee_div_zero 0
		.amdhsa_exception_fp_ieee_overflow 0
		.amdhsa_exception_fp_ieee_underflow 0
		.amdhsa_exception_fp_ieee_inexact 0
		.amdhsa_exception_int_div_zero 0
	.end_amdhsa_kernel
	.section	.text._Z17warp_store_kernelILj256ELj16ELj64ELN6hipcub18WarpStoreAlgorithmE1EiEvPT3_,"axG",@progbits,_Z17warp_store_kernelILj256ELj16ELj64ELN6hipcub18WarpStoreAlgorithmE1EiEvPT3_,comdat
.Lfunc_end46:
	.size	_Z17warp_store_kernelILj256ELj16ELj64ELN6hipcub18WarpStoreAlgorithmE1EiEvPT3_, .Lfunc_end46-_Z17warp_store_kernelILj256ELj16ELj64ELN6hipcub18WarpStoreAlgorithmE1EiEvPT3_
                                        ; -- End function
	.set _Z17warp_store_kernelILj256ELj16ELj64ELN6hipcub18WarpStoreAlgorithmE1EiEvPT3_.num_vgpr, 11
	.set _Z17warp_store_kernelILj256ELj16ELj64ELN6hipcub18WarpStoreAlgorithmE1EiEvPT3_.num_agpr, 0
	.set _Z17warp_store_kernelILj256ELj16ELj64ELN6hipcub18WarpStoreAlgorithmE1EiEvPT3_.numbered_sgpr, 5
	.set _Z17warp_store_kernelILj256ELj16ELj64ELN6hipcub18WarpStoreAlgorithmE1EiEvPT3_.num_named_barrier, 0
	.set _Z17warp_store_kernelILj256ELj16ELj64ELN6hipcub18WarpStoreAlgorithmE1EiEvPT3_.private_seg_size, 0
	.set _Z17warp_store_kernelILj256ELj16ELj64ELN6hipcub18WarpStoreAlgorithmE1EiEvPT3_.uses_vcc, 0
	.set _Z17warp_store_kernelILj256ELj16ELj64ELN6hipcub18WarpStoreAlgorithmE1EiEvPT3_.uses_flat_scratch, 0
	.set _Z17warp_store_kernelILj256ELj16ELj64ELN6hipcub18WarpStoreAlgorithmE1EiEvPT3_.has_dyn_sized_stack, 0
	.set _Z17warp_store_kernelILj256ELj16ELj64ELN6hipcub18WarpStoreAlgorithmE1EiEvPT3_.has_recursion, 0
	.set _Z17warp_store_kernelILj256ELj16ELj64ELN6hipcub18WarpStoreAlgorithmE1EiEvPT3_.has_indirect_call, 0
	.section	.AMDGPU.csdata,"",@progbits
; Kernel info:
; codeLenInByte = 388
; TotalNumSgprs: 5
; NumVgprs: 11
; ScratchSize: 0
; MemoryBound: 1
; FloatMode: 240
; IeeeMode: 1
; LDSByteSize: 0 bytes/workgroup (compile time only)
; SGPRBlocks: 0
; VGPRBlocks: 0
; NumSGPRsForWavesPerEU: 5
; NumVGPRsForWavesPerEU: 11
; NamedBarCnt: 0
; Occupancy: 16
; WaveLimiterHint : 1
; COMPUTE_PGM_RSRC2:SCRATCH_EN: 0
; COMPUTE_PGM_RSRC2:USER_SGPR: 2
; COMPUTE_PGM_RSRC2:TRAP_HANDLER: 0
; COMPUTE_PGM_RSRC2:TGID_X_EN: 1
; COMPUTE_PGM_RSRC2:TGID_Y_EN: 0
; COMPUTE_PGM_RSRC2:TGID_Z_EN: 0
; COMPUTE_PGM_RSRC2:TIDIG_COMP_CNT: 0
	.section	.text._Z17warp_store_kernelILj256ELj16ELj64ELN6hipcub18WarpStoreAlgorithmE2EiEvPT3_,"axG",@progbits,_Z17warp_store_kernelILj256ELj16ELj64ELN6hipcub18WarpStoreAlgorithmE2EiEvPT3_,comdat
	.protected	_Z17warp_store_kernelILj256ELj16ELj64ELN6hipcub18WarpStoreAlgorithmE2EiEvPT3_ ; -- Begin function _Z17warp_store_kernelILj256ELj16ELj64ELN6hipcub18WarpStoreAlgorithmE2EiEvPT3_
	.globl	_Z17warp_store_kernelILj256ELj16ELj64ELN6hipcub18WarpStoreAlgorithmE2EiEvPT3_
	.p2align	8
	.type	_Z17warp_store_kernelILj256ELj16ELj64ELN6hipcub18WarpStoreAlgorithmE2EiEvPT3_,@function
_Z17warp_store_kernelILj256ELj16ELj64ELN6hipcub18WarpStoreAlgorithmE2EiEvPT3_: ; @_Z17warp_store_kernelILj256ELj16ELj64ELN6hipcub18WarpStoreAlgorithmE2EiEvPT3_
; %bb.0:
	s_load_b64 s[0:1], s[0:1], 0x0
	s_bfe_u32 s2, ttmp6, 0x4000c
	s_and_b32 s3, ttmp6, 15
	s_add_co_i32 s2, s2, 1
	s_getreg_b32 s4, hwreg(HW_REG_IB_STS2, 6, 4)
	s_mul_i32 s2, ttmp9, s2
	v_dual_mov_b32 v11, 0 :: v_dual_lshlrev_b32 v0, 4, v0
	s_add_co_i32 s3, s3, s2
	s_cmp_eq_u32 s4, 0
	v_mbcnt_lo_u32_b32 v6, -1, 0
	s_cselect_b32 s2, ttmp9, s3
	v_mov_b32_e32 v5, 5
	s_lshl_b32 s2, s2, 12
	v_dual_mov_b32 v1, 1 :: v_dual_mov_b32 v2, 2
	v_and_or_b32 v10, 0xc00, v0, s2
	v_dual_mov_b32 v3, 3 :: v_dual_mov_b32 v4, 4
	v_dual_mov_b32 v8, 8 :: v_dual_mov_b32 v0, v11
	s_wait_kmcnt 0x0
	s_delay_alu instid0(VALU_DEP_3) | instskip(SKIP_3) | instid1(VALU_DEP_3)
	v_lshl_add_u64 v[12:13], v[10:11], 2, s[0:1]
	v_dual_lshlrev_b32 v10, 6, v6 :: v_dual_mov_b32 v6, 6
	v_dual_mov_b32 v7, 7 :: v_dual_mov_b32 v9, 9
	v_mov_b32_e32 v14, 14
	v_add_nc_u64_e32 v[16:17], v[12:13], v[10:11]
	v_dual_mov_b32 v10, 10 :: v_dual_mov_b32 v11, 11
	v_dual_mov_b32 v12, 12 :: v_dual_mov_b32 v13, 13
	v_mov_b32_e32 v15, 15
	s_clause 0x3
	global_store_b128 v[16:17], v[0:3], off
	global_store_b128 v[16:17], v[4:7], off offset:16
	global_store_b128 v[16:17], v[8:11], off offset:32
	;; [unrolled: 1-line block ×3, first 2 shown]
	s_endpgm
	.section	.rodata,"a",@progbits
	.p2align	6, 0x0
	.amdhsa_kernel _Z17warp_store_kernelILj256ELj16ELj64ELN6hipcub18WarpStoreAlgorithmE2EiEvPT3_
		.amdhsa_group_segment_fixed_size 0
		.amdhsa_private_segment_fixed_size 0
		.amdhsa_kernarg_size 8
		.amdhsa_user_sgpr_count 2
		.amdhsa_user_sgpr_dispatch_ptr 0
		.amdhsa_user_sgpr_queue_ptr 0
		.amdhsa_user_sgpr_kernarg_segment_ptr 1
		.amdhsa_user_sgpr_dispatch_id 0
		.amdhsa_user_sgpr_kernarg_preload_length 0
		.amdhsa_user_sgpr_kernarg_preload_offset 0
		.amdhsa_user_sgpr_private_segment_size 0
		.amdhsa_wavefront_size32 1
		.amdhsa_uses_dynamic_stack 0
		.amdhsa_enable_private_segment 0
		.amdhsa_system_sgpr_workgroup_id_x 1
		.amdhsa_system_sgpr_workgroup_id_y 0
		.amdhsa_system_sgpr_workgroup_id_z 0
		.amdhsa_system_sgpr_workgroup_info 0
		.amdhsa_system_vgpr_workitem_id 0
		.amdhsa_next_free_vgpr 18
		.amdhsa_next_free_sgpr 5
		.amdhsa_named_barrier_count 0
		.amdhsa_reserve_vcc 0
		.amdhsa_float_round_mode_32 0
		.amdhsa_float_round_mode_16_64 0
		.amdhsa_float_denorm_mode_32 3
		.amdhsa_float_denorm_mode_16_64 3
		.amdhsa_fp16_overflow 0
		.amdhsa_memory_ordered 1
		.amdhsa_forward_progress 1
		.amdhsa_inst_pref_size 2
		.amdhsa_round_robin_scheduling 0
		.amdhsa_exception_fp_ieee_invalid_op 0
		.amdhsa_exception_fp_denorm_src 0
		.amdhsa_exception_fp_ieee_div_zero 0
		.amdhsa_exception_fp_ieee_overflow 0
		.amdhsa_exception_fp_ieee_underflow 0
		.amdhsa_exception_fp_ieee_inexact 0
		.amdhsa_exception_int_div_zero 0
	.end_amdhsa_kernel
	.section	.text._Z17warp_store_kernelILj256ELj16ELj64ELN6hipcub18WarpStoreAlgorithmE2EiEvPT3_,"axG",@progbits,_Z17warp_store_kernelILj256ELj16ELj64ELN6hipcub18WarpStoreAlgorithmE2EiEvPT3_,comdat
.Lfunc_end47:
	.size	_Z17warp_store_kernelILj256ELj16ELj64ELN6hipcub18WarpStoreAlgorithmE2EiEvPT3_, .Lfunc_end47-_Z17warp_store_kernelILj256ELj16ELj64ELN6hipcub18WarpStoreAlgorithmE2EiEvPT3_
                                        ; -- End function
	.set _Z17warp_store_kernelILj256ELj16ELj64ELN6hipcub18WarpStoreAlgorithmE2EiEvPT3_.num_vgpr, 18
	.set _Z17warp_store_kernelILj256ELj16ELj64ELN6hipcub18WarpStoreAlgorithmE2EiEvPT3_.num_agpr, 0
	.set _Z17warp_store_kernelILj256ELj16ELj64ELN6hipcub18WarpStoreAlgorithmE2EiEvPT3_.numbered_sgpr, 5
	.set _Z17warp_store_kernelILj256ELj16ELj64ELN6hipcub18WarpStoreAlgorithmE2EiEvPT3_.num_named_barrier, 0
	.set _Z17warp_store_kernelILj256ELj16ELj64ELN6hipcub18WarpStoreAlgorithmE2EiEvPT3_.private_seg_size, 0
	.set _Z17warp_store_kernelILj256ELj16ELj64ELN6hipcub18WarpStoreAlgorithmE2EiEvPT3_.uses_vcc, 0
	.set _Z17warp_store_kernelILj256ELj16ELj64ELN6hipcub18WarpStoreAlgorithmE2EiEvPT3_.uses_flat_scratch, 0
	.set _Z17warp_store_kernelILj256ELj16ELj64ELN6hipcub18WarpStoreAlgorithmE2EiEvPT3_.has_dyn_sized_stack, 0
	.set _Z17warp_store_kernelILj256ELj16ELj64ELN6hipcub18WarpStoreAlgorithmE2EiEvPT3_.has_recursion, 0
	.set _Z17warp_store_kernelILj256ELj16ELj64ELN6hipcub18WarpStoreAlgorithmE2EiEvPT3_.has_indirect_call, 0
	.section	.AMDGPU.csdata,"",@progbits
; Kernel info:
; codeLenInByte = 232
; TotalNumSgprs: 5
; NumVgprs: 18
; ScratchSize: 0
; MemoryBound: 1
; FloatMode: 240
; IeeeMode: 1
; LDSByteSize: 0 bytes/workgroup (compile time only)
; SGPRBlocks: 0
; VGPRBlocks: 1
; NumSGPRsForWavesPerEU: 5
; NumVGPRsForWavesPerEU: 18
; NamedBarCnt: 0
; Occupancy: 16
; WaveLimiterHint : 1
; COMPUTE_PGM_RSRC2:SCRATCH_EN: 0
; COMPUTE_PGM_RSRC2:USER_SGPR: 2
; COMPUTE_PGM_RSRC2:TRAP_HANDLER: 0
; COMPUTE_PGM_RSRC2:TGID_X_EN: 1
; COMPUTE_PGM_RSRC2:TGID_Y_EN: 0
; COMPUTE_PGM_RSRC2:TGID_Z_EN: 0
; COMPUTE_PGM_RSRC2:TIDIG_COMP_CNT: 0
	.section	.text._Z17warp_store_kernelILj256ELj16ELj64ELN6hipcub18WarpStoreAlgorithmE3EiEvPT3_,"axG",@progbits,_Z17warp_store_kernelILj256ELj16ELj64ELN6hipcub18WarpStoreAlgorithmE3EiEvPT3_,comdat
	.protected	_Z17warp_store_kernelILj256ELj16ELj64ELN6hipcub18WarpStoreAlgorithmE3EiEvPT3_ ; -- Begin function _Z17warp_store_kernelILj256ELj16ELj64ELN6hipcub18WarpStoreAlgorithmE3EiEvPT3_
	.globl	_Z17warp_store_kernelILj256ELj16ELj64ELN6hipcub18WarpStoreAlgorithmE3EiEvPT3_
	.p2align	8
	.type	_Z17warp_store_kernelILj256ELj16ELj64ELN6hipcub18WarpStoreAlgorithmE3EiEvPT3_,@function
_Z17warp_store_kernelILj256ELj16ELj64ELN6hipcub18WarpStoreAlgorithmE3EiEvPT3_: ; @_Z17warp_store_kernelILj256ELj16ELj64ELN6hipcub18WarpStoreAlgorithmE3EiEvPT3_
; %bb.0:
	s_load_b64 s[0:1], s[0:1], 0x0
	s_bfe_u32 s2, ttmp6, 0x4000c
	s_and_b32 s3, ttmp6, 15
	s_add_co_i32 s2, s2, 1
	s_getreg_b32 s4, hwreg(HW_REG_IB_STS2, 6, 4)
	s_mul_i32 s2, ttmp9, s2
	v_dual_mov_b32 v17, 0 :: v_dual_lshrrev_b32 v0, 6, v0
	s_add_co_i32 s3, s3, s2
	s_cmp_eq_u32 s4, 0
	v_mbcnt_lo_u32_b32 v14, -1, 0
	s_cselect_b32 s2, ttmp9, s3
	v_dual_mov_b32 v1, 1 :: v_dual_lshlrev_b32 v20, 12, v0
	s_lshl_b32 s2, s2, 12
	v_mov_b32_e32 v13, 13
	v_lshl_or_b32 v16, v0, 10, s2
	v_dual_mov_b32 v2, 2 :: v_dual_mov_b32 v3, 3
	v_dual_mov_b32 v0, v17 :: v_dual_mov_b32 v4, 4
	s_wait_kmcnt 0x0
	s_delay_alu instid0(VALU_DEP_3)
	v_lshl_add_u64 v[18:19], v[16:17], 2, s[0:1]
	v_lshlrev_b32_e32 v16, 2, v14
	v_lshl_or_b32 v21, v14, 6, v20
	v_dual_mov_b32 v7, 7 :: v_dual_mov_b32 v8, 8
	v_dual_mov_b32 v9, 9 :: v_dual_mov_b32 v10, 10
	;; [unrolled: 1-line block ×3, first 2 shown]
	v_dual_mov_b32 v5, 5 :: v_dual_bitop2_b32 v20, v20, v16 bitop3:0x54
	v_dual_mov_b32 v6, 6 :: v_dual_mov_b32 v14, 14
	v_mov_b32_e32 v15, 15
	ds_store_b128 v21, v[0:3]
	ds_store_b128 v21, v[4:7] offset:16
	ds_store_b128 v21, v[8:11] offset:32
	;; [unrolled: 1-line block ×3, first 2 shown]
	; wave barrier
	ds_load_2addr_stride64_b32 v[0:1], v20 offset1:1
	ds_load_2addr_stride64_b32 v[2:3], v20 offset0:2 offset1:3
	ds_load_2addr_stride64_b32 v[4:5], v20 offset0:4 offset1:5
	;; [unrolled: 1-line block ×6, first 2 shown]
	v_add_nc_u64_e32 v[14:15], v[18:19], v[16:17]
	ds_load_2addr_stride64_b32 v[16:17], v20 offset0:14 offset1:15
	s_wait_dscnt 0x7
	s_clause 0x1
	global_store_b32 v[14:15], v0, off
	global_store_b32 v[14:15], v1, off offset:256
	s_wait_dscnt 0x6
	s_clause 0x1
	global_store_b32 v[14:15], v2, off offset:512
	global_store_b32 v[14:15], v3, off offset:768
	s_wait_dscnt 0x5
	s_clause 0x1
	global_store_b32 v[14:15], v4, off offset:1024
	;; [unrolled: 4-line block ×7, first 2 shown]
	global_store_b32 v[14:15], v17, off offset:3840
	s_endpgm
	.section	.rodata,"a",@progbits
	.p2align	6, 0x0
	.amdhsa_kernel _Z17warp_store_kernelILj256ELj16ELj64ELN6hipcub18WarpStoreAlgorithmE3EiEvPT3_
		.amdhsa_group_segment_fixed_size 16384
		.amdhsa_private_segment_fixed_size 0
		.amdhsa_kernarg_size 8
		.amdhsa_user_sgpr_count 2
		.amdhsa_user_sgpr_dispatch_ptr 0
		.amdhsa_user_sgpr_queue_ptr 0
		.amdhsa_user_sgpr_kernarg_segment_ptr 1
		.amdhsa_user_sgpr_dispatch_id 0
		.amdhsa_user_sgpr_kernarg_preload_length 0
		.amdhsa_user_sgpr_kernarg_preload_offset 0
		.amdhsa_user_sgpr_private_segment_size 0
		.amdhsa_wavefront_size32 1
		.amdhsa_uses_dynamic_stack 0
		.amdhsa_enable_private_segment 0
		.amdhsa_system_sgpr_workgroup_id_x 1
		.amdhsa_system_sgpr_workgroup_id_y 0
		.amdhsa_system_sgpr_workgroup_id_z 0
		.amdhsa_system_sgpr_workgroup_info 0
		.amdhsa_system_vgpr_workitem_id 0
		.amdhsa_next_free_vgpr 22
		.amdhsa_next_free_sgpr 5
		.amdhsa_named_barrier_count 0
		.amdhsa_reserve_vcc 0
		.amdhsa_float_round_mode_32 0
		.amdhsa_float_round_mode_16_64 0
		.amdhsa_float_denorm_mode_32 3
		.amdhsa_float_denorm_mode_16_64 3
		.amdhsa_fp16_overflow 0
		.amdhsa_memory_ordered 1
		.amdhsa_forward_progress 1
		.amdhsa_inst_pref_size 5
		.amdhsa_round_robin_scheduling 0
		.amdhsa_exception_fp_ieee_invalid_op 0
		.amdhsa_exception_fp_denorm_src 0
		.amdhsa_exception_fp_ieee_div_zero 0
		.amdhsa_exception_fp_ieee_overflow 0
		.amdhsa_exception_fp_ieee_underflow 0
		.amdhsa_exception_fp_ieee_inexact 0
		.amdhsa_exception_int_div_zero 0
	.end_amdhsa_kernel
	.section	.text._Z17warp_store_kernelILj256ELj16ELj64ELN6hipcub18WarpStoreAlgorithmE3EiEvPT3_,"axG",@progbits,_Z17warp_store_kernelILj256ELj16ELj64ELN6hipcub18WarpStoreAlgorithmE3EiEvPT3_,comdat
.Lfunc_end48:
	.size	_Z17warp_store_kernelILj256ELj16ELj64ELN6hipcub18WarpStoreAlgorithmE3EiEvPT3_, .Lfunc_end48-_Z17warp_store_kernelILj256ELj16ELj64ELN6hipcub18WarpStoreAlgorithmE3EiEvPT3_
                                        ; -- End function
	.set _Z17warp_store_kernelILj256ELj16ELj64ELN6hipcub18WarpStoreAlgorithmE3EiEvPT3_.num_vgpr, 22
	.set _Z17warp_store_kernelILj256ELj16ELj64ELN6hipcub18WarpStoreAlgorithmE3EiEvPT3_.num_agpr, 0
	.set _Z17warp_store_kernelILj256ELj16ELj64ELN6hipcub18WarpStoreAlgorithmE3EiEvPT3_.numbered_sgpr, 5
	.set _Z17warp_store_kernelILj256ELj16ELj64ELN6hipcub18WarpStoreAlgorithmE3EiEvPT3_.num_named_barrier, 0
	.set _Z17warp_store_kernelILj256ELj16ELj64ELN6hipcub18WarpStoreAlgorithmE3EiEvPT3_.private_seg_size, 0
	.set _Z17warp_store_kernelILj256ELj16ELj64ELN6hipcub18WarpStoreAlgorithmE3EiEvPT3_.uses_vcc, 0
	.set _Z17warp_store_kernelILj256ELj16ELj64ELN6hipcub18WarpStoreAlgorithmE3EiEvPT3_.uses_flat_scratch, 0
	.set _Z17warp_store_kernelILj256ELj16ELj64ELN6hipcub18WarpStoreAlgorithmE3EiEvPT3_.has_dyn_sized_stack, 0
	.set _Z17warp_store_kernelILj256ELj16ELj64ELN6hipcub18WarpStoreAlgorithmE3EiEvPT3_.has_recursion, 0
	.set _Z17warp_store_kernelILj256ELj16ELj64ELN6hipcub18WarpStoreAlgorithmE3EiEvPT3_.has_indirect_call, 0
	.section	.AMDGPU.csdata,"",@progbits
; Kernel info:
; codeLenInByte = 544
; TotalNumSgprs: 5
; NumVgprs: 22
; ScratchSize: 0
; MemoryBound: 1
; FloatMode: 240
; IeeeMode: 1
; LDSByteSize: 16384 bytes/workgroup (compile time only)
; SGPRBlocks: 0
; VGPRBlocks: 1
; NumSGPRsForWavesPerEU: 5
; NumVGPRsForWavesPerEU: 22
; NamedBarCnt: 0
; Occupancy: 16
; WaveLimiterHint : 1
; COMPUTE_PGM_RSRC2:SCRATCH_EN: 0
; COMPUTE_PGM_RSRC2:USER_SGPR: 2
; COMPUTE_PGM_RSRC2:TRAP_HANDLER: 0
; COMPUTE_PGM_RSRC2:TGID_X_EN: 1
; COMPUTE_PGM_RSRC2:TGID_Y_EN: 0
; COMPUTE_PGM_RSRC2:TGID_Z_EN: 0
; COMPUTE_PGM_RSRC2:TIDIG_COMP_CNT: 0
	.section	.text._Z17warp_store_kernelILj256ELj32ELj64ELN6hipcub18WarpStoreAlgorithmE0EiEvPT3_,"axG",@progbits,_Z17warp_store_kernelILj256ELj32ELj64ELN6hipcub18WarpStoreAlgorithmE0EiEvPT3_,comdat
	.protected	_Z17warp_store_kernelILj256ELj32ELj64ELN6hipcub18WarpStoreAlgorithmE0EiEvPT3_ ; -- Begin function _Z17warp_store_kernelILj256ELj32ELj64ELN6hipcub18WarpStoreAlgorithmE0EiEvPT3_
	.globl	_Z17warp_store_kernelILj256ELj32ELj64ELN6hipcub18WarpStoreAlgorithmE0EiEvPT3_
	.p2align	8
	.type	_Z17warp_store_kernelILj256ELj32ELj64ELN6hipcub18WarpStoreAlgorithmE0EiEvPT3_,@function
_Z17warp_store_kernelILj256ELj32ELj64ELN6hipcub18WarpStoreAlgorithmE0EiEvPT3_: ; @_Z17warp_store_kernelILj256ELj32ELj64ELN6hipcub18WarpStoreAlgorithmE0EiEvPT3_
; %bb.0:
	s_load_b64 s[0:1], s[0:1], 0x0
	s_bfe_u32 s2, ttmp6, 0x4000c
	s_and_b32 s3, ttmp6, 15
	s_add_co_i32 s2, s2, 1
	s_getreg_b32 s4, hwreg(HW_REG_IB_STS2, 6, 4)
	s_mul_i32 s2, ttmp9, s2
	v_dual_mov_b32 v11, 0 :: v_dual_lshlrev_b32 v0, 5, v0
	s_add_co_i32 s3, s3, s2
	s_cmp_eq_u32 s4, 0
	v_mbcnt_lo_u32_b32 v5, -1, 0
	s_cselect_b32 s2, ttmp9, s3
	v_dual_mov_b32 v1, 1 :: v_dual_mov_b32 v2, 2
	s_lshl_b32 s2, s2, 13
	v_dual_mov_b32 v3, 3 :: v_dual_mov_b32 v4, 4
	v_and_or_b32 v10, 0x1800, v0, s2
	v_dual_mov_b32 v0, v11 :: v_dual_mov_b32 v6, 6
	v_dual_mov_b32 v7, 7 :: v_dual_mov_b32 v8, 8
	v_mov_b32_e32 v9, 9
	s_wait_kmcnt 0x0
	v_lshl_add_u64 v[12:13], v[10:11], 2, s[0:1]
	v_dual_mov_b32 v5, 5 :: v_dual_lshlrev_b32 v10, 7, v5
	v_dual_mov_b32 v14, 14 :: v_dual_mov_b32 v15, 15
	v_dual_mov_b32 v17, 25 :: v_dual_mov_b32 v18, 26
	s_delay_alu instid0(VALU_DEP_3)
	v_add_nc_u64_e32 v[24:25], v[12:13], v[10:11]
	v_dual_mov_b32 v10, 10 :: v_dual_mov_b32 v11, 11
	v_dual_mov_b32 v12, 12 :: v_dual_mov_b32 v13, 13
	s_clause 0x1
	global_store_b128 v[24:25], v[0:3], off
	global_store_b128 v[24:25], v[4:7], off offset:16
	s_wait_xcnt 0x1
	v_dual_mov_b32 v0, 16 :: v_dual_mov_b32 v1, 17
	v_dual_mov_b32 v2, 18 :: v_dual_mov_b32 v3, 19
	s_wait_xcnt 0x0
	v_dual_mov_b32 v4, 20 :: v_dual_mov_b32 v5, 21
	v_dual_mov_b32 v6, 22 :: v_dual_mov_b32 v7, 23
	;; [unrolled: 1-line block ×5, first 2 shown]
	s_clause 0x5
	global_store_b128 v[24:25], v[8:11], off offset:32
	global_store_b128 v[24:25], v[12:15], off offset:48
	;; [unrolled: 1-line block ×6, first 2 shown]
	s_endpgm
	.section	.rodata,"a",@progbits
	.p2align	6, 0x0
	.amdhsa_kernel _Z17warp_store_kernelILj256ELj32ELj64ELN6hipcub18WarpStoreAlgorithmE0EiEvPT3_
		.amdhsa_group_segment_fixed_size 0
		.amdhsa_private_segment_fixed_size 0
		.amdhsa_kernarg_size 8
		.amdhsa_user_sgpr_count 2
		.amdhsa_user_sgpr_dispatch_ptr 0
		.amdhsa_user_sgpr_queue_ptr 0
		.amdhsa_user_sgpr_kernarg_segment_ptr 1
		.amdhsa_user_sgpr_dispatch_id 0
		.amdhsa_user_sgpr_kernarg_preload_length 0
		.amdhsa_user_sgpr_kernarg_preload_offset 0
		.amdhsa_user_sgpr_private_segment_size 0
		.amdhsa_wavefront_size32 1
		.amdhsa_uses_dynamic_stack 0
		.amdhsa_enable_private_segment 0
		.amdhsa_system_sgpr_workgroup_id_x 1
		.amdhsa_system_sgpr_workgroup_id_y 0
		.amdhsa_system_sgpr_workgroup_id_z 0
		.amdhsa_system_sgpr_workgroup_info 0
		.amdhsa_system_vgpr_workitem_id 0
		.amdhsa_next_free_vgpr 26
		.amdhsa_next_free_sgpr 5
		.amdhsa_named_barrier_count 0
		.amdhsa_reserve_vcc 0
		.amdhsa_float_round_mode_32 0
		.amdhsa_float_round_mode_16_64 0
		.amdhsa_float_denorm_mode_32 3
		.amdhsa_float_denorm_mode_16_64 3
		.amdhsa_fp16_overflow 0
		.amdhsa_memory_ordered 1
		.amdhsa_forward_progress 1
		.amdhsa_inst_pref_size 3
		.amdhsa_round_robin_scheduling 0
		.amdhsa_exception_fp_ieee_invalid_op 0
		.amdhsa_exception_fp_denorm_src 0
		.amdhsa_exception_fp_ieee_div_zero 0
		.amdhsa_exception_fp_ieee_overflow 0
		.amdhsa_exception_fp_ieee_underflow 0
		.amdhsa_exception_fp_ieee_inexact 0
		.amdhsa_exception_int_div_zero 0
	.end_amdhsa_kernel
	.section	.text._Z17warp_store_kernelILj256ELj32ELj64ELN6hipcub18WarpStoreAlgorithmE0EiEvPT3_,"axG",@progbits,_Z17warp_store_kernelILj256ELj32ELj64ELN6hipcub18WarpStoreAlgorithmE0EiEvPT3_,comdat
.Lfunc_end49:
	.size	_Z17warp_store_kernelILj256ELj32ELj64ELN6hipcub18WarpStoreAlgorithmE0EiEvPT3_, .Lfunc_end49-_Z17warp_store_kernelILj256ELj32ELj64ELN6hipcub18WarpStoreAlgorithmE0EiEvPT3_
                                        ; -- End function
	.set _Z17warp_store_kernelILj256ELj32ELj64ELN6hipcub18WarpStoreAlgorithmE0EiEvPT3_.num_vgpr, 26
	.set _Z17warp_store_kernelILj256ELj32ELj64ELN6hipcub18WarpStoreAlgorithmE0EiEvPT3_.num_agpr, 0
	.set _Z17warp_store_kernelILj256ELj32ELj64ELN6hipcub18WarpStoreAlgorithmE0EiEvPT3_.numbered_sgpr, 5
	.set _Z17warp_store_kernelILj256ELj32ELj64ELN6hipcub18WarpStoreAlgorithmE0EiEvPT3_.num_named_barrier, 0
	.set _Z17warp_store_kernelILj256ELj32ELj64ELN6hipcub18WarpStoreAlgorithmE0EiEvPT3_.private_seg_size, 0
	.set _Z17warp_store_kernelILj256ELj32ELj64ELN6hipcub18WarpStoreAlgorithmE0EiEvPT3_.uses_vcc, 0
	.set _Z17warp_store_kernelILj256ELj32ELj64ELN6hipcub18WarpStoreAlgorithmE0EiEvPT3_.uses_flat_scratch, 0
	.set _Z17warp_store_kernelILj256ELj32ELj64ELN6hipcub18WarpStoreAlgorithmE0EiEvPT3_.has_dyn_sized_stack, 0
	.set _Z17warp_store_kernelILj256ELj32ELj64ELN6hipcub18WarpStoreAlgorithmE0EiEvPT3_.has_recursion, 0
	.set _Z17warp_store_kernelILj256ELj32ELj64ELN6hipcub18WarpStoreAlgorithmE0EiEvPT3_.has_indirect_call, 0
	.section	.AMDGPU.csdata,"",@progbits
; Kernel info:
; codeLenInByte = 348
; TotalNumSgprs: 5
; NumVgprs: 26
; ScratchSize: 0
; MemoryBound: 1
; FloatMode: 240
; IeeeMode: 1
; LDSByteSize: 0 bytes/workgroup (compile time only)
; SGPRBlocks: 0
; VGPRBlocks: 1
; NumSGPRsForWavesPerEU: 5
; NumVGPRsForWavesPerEU: 26
; NamedBarCnt: 0
; Occupancy: 16
; WaveLimiterHint : 1
; COMPUTE_PGM_RSRC2:SCRATCH_EN: 0
; COMPUTE_PGM_RSRC2:USER_SGPR: 2
; COMPUTE_PGM_RSRC2:TRAP_HANDLER: 0
; COMPUTE_PGM_RSRC2:TGID_X_EN: 1
; COMPUTE_PGM_RSRC2:TGID_Y_EN: 0
; COMPUTE_PGM_RSRC2:TGID_Z_EN: 0
; COMPUTE_PGM_RSRC2:TIDIG_COMP_CNT: 0
	.section	.text._Z17warp_store_kernelILj256ELj32ELj64ELN6hipcub18WarpStoreAlgorithmE1EiEvPT3_,"axG",@progbits,_Z17warp_store_kernelILj256ELj32ELj64ELN6hipcub18WarpStoreAlgorithmE1EiEvPT3_,comdat
	.protected	_Z17warp_store_kernelILj256ELj32ELj64ELN6hipcub18WarpStoreAlgorithmE1EiEvPT3_ ; -- Begin function _Z17warp_store_kernelILj256ELj32ELj64ELN6hipcub18WarpStoreAlgorithmE1EiEvPT3_
	.globl	_Z17warp_store_kernelILj256ELj32ELj64ELN6hipcub18WarpStoreAlgorithmE1EiEvPT3_
	.p2align	8
	.type	_Z17warp_store_kernelILj256ELj32ELj64ELN6hipcub18WarpStoreAlgorithmE1EiEvPT3_,@function
_Z17warp_store_kernelILj256ELj32ELj64ELN6hipcub18WarpStoreAlgorithmE1EiEvPT3_: ; @_Z17warp_store_kernelILj256ELj32ELj64ELN6hipcub18WarpStoreAlgorithmE1EiEvPT3_
; %bb.0:
	s_load_b64 s[0:1], s[0:1], 0x0
	s_bfe_u32 s2, ttmp6, 0x4000c
	s_and_b32 s3, ttmp6, 15
	s_add_co_i32 s2, s2, 1
	s_getreg_b32 s4, hwreg(HW_REG_IB_STS2, 6, 4)
	s_mul_i32 s2, ttmp9, s2
	v_dual_mov_b32 v1, 0 :: v_dual_lshlrev_b32 v0, 5, v0
	s_add_co_i32 s3, s3, s2
	s_cmp_eq_u32 s4, 0
	v_mbcnt_lo_u32_b32 v4, -1, 0
	s_cselect_b32 s2, ttmp9, s3
	v_mov_b32_e32 v5, 2
	s_lshl_b32 s2, s2, 13
	v_dual_mov_b32 v6, 3 :: v_dual_mov_b32 v7, 4
	v_and_or_b32 v0, 0x1800, v0, s2
	v_dual_mov_b32 v10, 8 :: v_dual_mov_b32 v8, 6
	v_mov_b32_e32 v9, 7
	s_wait_kmcnt 0x0
	s_delay_alu instid0(VALU_DEP_3) | instskip(SKIP_1) | instid1(VALU_DEP_1)
	v_lshl_add_u64 v[2:3], v[0:1], 2, s[0:1]
	v_dual_lshlrev_b32 v0, 2, v4 :: v_dual_mov_b32 v4, 5
	v_add_nc_u64_e32 v[2:3], v[2:3], v[0:1]
	v_mov_b32_e32 v0, 1
	s_clause 0x7
	global_store_b32 v[2:3], v1, off
	global_store_b32 v[2:3], v0, off offset:256
	global_store_b32 v[2:3], v5, off offset:512
	;; [unrolled: 1-line block ×7, first 2 shown]
	s_wait_xcnt 0x6
	v_dual_mov_b32 v0, 9 :: v_dual_mov_b32 v1, 10
	s_wait_xcnt 0x2
	v_dual_mov_b32 v4, 11 :: v_dual_mov_b32 v5, 12
	v_dual_mov_b32 v6, 13 :: v_dual_mov_b32 v7, 14
	s_wait_xcnt 0x1
	v_mov_b32_e32 v8, 15
	s_clause 0x7
	global_store_b32 v[2:3], v10, off offset:2048
	global_store_b32 v[2:3], v0, off offset:2304
	global_store_b32 v[2:3], v1, off offset:2560
	global_store_b32 v[2:3], v4, off offset:2816
	global_store_b32 v[2:3], v5, off offset:3072
	global_store_b32 v[2:3], v6, off offset:3328
	global_store_b32 v[2:3], v7, off offset:3584
	global_store_b32 v[2:3], v8, off offset:3840
	s_wait_xcnt 0x5
	v_dual_mov_b32 v0, 16 :: v_dual_mov_b32 v1, 17
	s_wait_xcnt 0x3
	v_dual_mov_b32 v4, 18 :: v_dual_mov_b32 v5, 19
	;; [unrolled: 2-line block ×4, first 2 shown]
	s_clause 0x7
	global_store_b32 v[2:3], v0, off offset:4096
	global_store_b32 v[2:3], v1, off offset:4352
	;; [unrolled: 1-line block ×8, first 2 shown]
	s_wait_xcnt 0x6
	v_dual_mov_b32 v0, 24 :: v_dual_mov_b32 v1, 25
	s_wait_xcnt 0x4
	v_dual_mov_b32 v4, 26 :: v_dual_mov_b32 v5, 27
	;; [unrolled: 2-line block ×4, first 2 shown]
	s_clause 0x7
	global_store_b32 v[2:3], v0, off offset:6144
	global_store_b32 v[2:3], v1, off offset:6400
	;; [unrolled: 1-line block ×8, first 2 shown]
	s_endpgm
	.section	.rodata,"a",@progbits
	.p2align	6, 0x0
	.amdhsa_kernel _Z17warp_store_kernelILj256ELj32ELj64ELN6hipcub18WarpStoreAlgorithmE1EiEvPT3_
		.amdhsa_group_segment_fixed_size 0
		.amdhsa_private_segment_fixed_size 0
		.amdhsa_kernarg_size 8
		.amdhsa_user_sgpr_count 2
		.amdhsa_user_sgpr_dispatch_ptr 0
		.amdhsa_user_sgpr_queue_ptr 0
		.amdhsa_user_sgpr_kernarg_segment_ptr 1
		.amdhsa_user_sgpr_dispatch_id 0
		.amdhsa_user_sgpr_kernarg_preload_length 0
		.amdhsa_user_sgpr_kernarg_preload_offset 0
		.amdhsa_user_sgpr_private_segment_size 0
		.amdhsa_wavefront_size32 1
		.amdhsa_uses_dynamic_stack 0
		.amdhsa_enable_private_segment 0
		.amdhsa_system_sgpr_workgroup_id_x 1
		.amdhsa_system_sgpr_workgroup_id_y 0
		.amdhsa_system_sgpr_workgroup_id_z 0
		.amdhsa_system_sgpr_workgroup_info 0
		.amdhsa_system_vgpr_workitem_id 0
		.amdhsa_next_free_vgpr 11
		.amdhsa_next_free_sgpr 5
		.amdhsa_named_barrier_count 0
		.amdhsa_reserve_vcc 0
		.amdhsa_float_round_mode_32 0
		.amdhsa_float_round_mode_16_64 0
		.amdhsa_float_denorm_mode_32 3
		.amdhsa_float_denorm_mode_16_64 3
		.amdhsa_fp16_overflow 0
		.amdhsa_memory_ordered 1
		.amdhsa_forward_progress 1
		.amdhsa_inst_pref_size 6
		.amdhsa_round_robin_scheduling 0
		.amdhsa_exception_fp_ieee_invalid_op 0
		.amdhsa_exception_fp_denorm_src 0
		.amdhsa_exception_fp_ieee_div_zero 0
		.amdhsa_exception_fp_ieee_overflow 0
		.amdhsa_exception_fp_ieee_underflow 0
		.amdhsa_exception_fp_ieee_inexact 0
		.amdhsa_exception_int_div_zero 0
	.end_amdhsa_kernel
	.section	.text._Z17warp_store_kernelILj256ELj32ELj64ELN6hipcub18WarpStoreAlgorithmE1EiEvPT3_,"axG",@progbits,_Z17warp_store_kernelILj256ELj32ELj64ELN6hipcub18WarpStoreAlgorithmE1EiEvPT3_,comdat
.Lfunc_end50:
	.size	_Z17warp_store_kernelILj256ELj32ELj64ELN6hipcub18WarpStoreAlgorithmE1EiEvPT3_, .Lfunc_end50-_Z17warp_store_kernelILj256ELj32ELj64ELN6hipcub18WarpStoreAlgorithmE1EiEvPT3_
                                        ; -- End function
	.set _Z17warp_store_kernelILj256ELj32ELj64ELN6hipcub18WarpStoreAlgorithmE1EiEvPT3_.num_vgpr, 11
	.set _Z17warp_store_kernelILj256ELj32ELj64ELN6hipcub18WarpStoreAlgorithmE1EiEvPT3_.num_agpr, 0
	.set _Z17warp_store_kernelILj256ELj32ELj64ELN6hipcub18WarpStoreAlgorithmE1EiEvPT3_.numbered_sgpr, 5
	.set _Z17warp_store_kernelILj256ELj32ELj64ELN6hipcub18WarpStoreAlgorithmE1EiEvPT3_.num_named_barrier, 0
	.set _Z17warp_store_kernelILj256ELj32ELj64ELN6hipcub18WarpStoreAlgorithmE1EiEvPT3_.private_seg_size, 0
	.set _Z17warp_store_kernelILj256ELj32ELj64ELN6hipcub18WarpStoreAlgorithmE1EiEvPT3_.uses_vcc, 0
	.set _Z17warp_store_kernelILj256ELj32ELj64ELN6hipcub18WarpStoreAlgorithmE1EiEvPT3_.uses_flat_scratch, 0
	.set _Z17warp_store_kernelILj256ELj32ELj64ELN6hipcub18WarpStoreAlgorithmE1EiEvPT3_.has_dyn_sized_stack, 0
	.set _Z17warp_store_kernelILj256ELj32ELj64ELN6hipcub18WarpStoreAlgorithmE1EiEvPT3_.has_recursion, 0
	.set _Z17warp_store_kernelILj256ELj32ELj64ELN6hipcub18WarpStoreAlgorithmE1EiEvPT3_.has_indirect_call, 0
	.section	.AMDGPU.csdata,"",@progbits
; Kernel info:
; codeLenInByte = 680
; TotalNumSgprs: 5
; NumVgprs: 11
; ScratchSize: 0
; MemoryBound: 1
; FloatMode: 240
; IeeeMode: 1
; LDSByteSize: 0 bytes/workgroup (compile time only)
; SGPRBlocks: 0
; VGPRBlocks: 0
; NumSGPRsForWavesPerEU: 5
; NumVGPRsForWavesPerEU: 11
; NamedBarCnt: 0
; Occupancy: 16
; WaveLimiterHint : 1
; COMPUTE_PGM_RSRC2:SCRATCH_EN: 0
; COMPUTE_PGM_RSRC2:USER_SGPR: 2
; COMPUTE_PGM_RSRC2:TRAP_HANDLER: 0
; COMPUTE_PGM_RSRC2:TGID_X_EN: 1
; COMPUTE_PGM_RSRC2:TGID_Y_EN: 0
; COMPUTE_PGM_RSRC2:TGID_Z_EN: 0
; COMPUTE_PGM_RSRC2:TIDIG_COMP_CNT: 0
	.section	.text._Z17warp_store_kernelILj256ELj32ELj64ELN6hipcub18WarpStoreAlgorithmE2EiEvPT3_,"axG",@progbits,_Z17warp_store_kernelILj256ELj32ELj64ELN6hipcub18WarpStoreAlgorithmE2EiEvPT3_,comdat
	.protected	_Z17warp_store_kernelILj256ELj32ELj64ELN6hipcub18WarpStoreAlgorithmE2EiEvPT3_ ; -- Begin function _Z17warp_store_kernelILj256ELj32ELj64ELN6hipcub18WarpStoreAlgorithmE2EiEvPT3_
	.globl	_Z17warp_store_kernelILj256ELj32ELj64ELN6hipcub18WarpStoreAlgorithmE2EiEvPT3_
	.p2align	8
	.type	_Z17warp_store_kernelILj256ELj32ELj64ELN6hipcub18WarpStoreAlgorithmE2EiEvPT3_,@function
_Z17warp_store_kernelILj256ELj32ELj64ELN6hipcub18WarpStoreAlgorithmE2EiEvPT3_: ; @_Z17warp_store_kernelILj256ELj32ELj64ELN6hipcub18WarpStoreAlgorithmE2EiEvPT3_
; %bb.0:
	s_load_b64 s[0:1], s[0:1], 0x0
	s_bfe_u32 s2, ttmp6, 0x4000c
	s_and_b32 s3, ttmp6, 15
	s_add_co_i32 s2, s2, 1
	s_getreg_b32 s4, hwreg(HW_REG_IB_STS2, 6, 4)
	s_mul_i32 s2, ttmp9, s2
	v_dual_mov_b32 v11, 0 :: v_dual_lshlrev_b32 v0, 5, v0
	s_add_co_i32 s3, s3, s2
	s_cmp_eq_u32 s4, 0
	v_mbcnt_lo_u32_b32 v5, -1, 0
	s_cselect_b32 s2, ttmp9, s3
	v_dual_mov_b32 v1, 1 :: v_dual_mov_b32 v2, 2
	s_lshl_b32 s2, s2, 13
	v_dual_mov_b32 v3, 3 :: v_dual_mov_b32 v4, 4
	v_and_or_b32 v10, 0x1800, v0, s2
	v_dual_mov_b32 v0, v11 :: v_dual_mov_b32 v6, 6
	v_dual_mov_b32 v7, 7 :: v_dual_mov_b32 v8, 8
	v_mov_b32_e32 v9, 9
	s_wait_kmcnt 0x0
	v_lshl_add_u64 v[12:13], v[10:11], 2, s[0:1]
	v_dual_mov_b32 v5, 5 :: v_dual_lshlrev_b32 v10, 7, v5
	v_dual_mov_b32 v14, 14 :: v_dual_mov_b32 v15, 15
	v_dual_mov_b32 v17, 25 :: v_dual_mov_b32 v18, 26
	s_delay_alu instid0(VALU_DEP_3)
	v_add_nc_u64_e32 v[24:25], v[12:13], v[10:11]
	v_dual_mov_b32 v10, 10 :: v_dual_mov_b32 v11, 11
	v_dual_mov_b32 v12, 12 :: v_dual_mov_b32 v13, 13
	s_clause 0x1
	global_store_b128 v[24:25], v[0:3], off
	global_store_b128 v[24:25], v[4:7], off offset:16
	s_wait_xcnt 0x1
	v_dual_mov_b32 v0, 16 :: v_dual_mov_b32 v1, 17
	v_dual_mov_b32 v2, 18 :: v_dual_mov_b32 v3, 19
	s_wait_xcnt 0x0
	v_dual_mov_b32 v4, 20 :: v_dual_mov_b32 v5, 21
	v_dual_mov_b32 v6, 22 :: v_dual_mov_b32 v7, 23
	;; [unrolled: 1-line block ×5, first 2 shown]
	s_clause 0x5
	global_store_b128 v[24:25], v[8:11], off offset:32
	global_store_b128 v[24:25], v[12:15], off offset:48
	;; [unrolled: 1-line block ×6, first 2 shown]
	s_endpgm
	.section	.rodata,"a",@progbits
	.p2align	6, 0x0
	.amdhsa_kernel _Z17warp_store_kernelILj256ELj32ELj64ELN6hipcub18WarpStoreAlgorithmE2EiEvPT3_
		.amdhsa_group_segment_fixed_size 0
		.amdhsa_private_segment_fixed_size 0
		.amdhsa_kernarg_size 8
		.amdhsa_user_sgpr_count 2
		.amdhsa_user_sgpr_dispatch_ptr 0
		.amdhsa_user_sgpr_queue_ptr 0
		.amdhsa_user_sgpr_kernarg_segment_ptr 1
		.amdhsa_user_sgpr_dispatch_id 0
		.amdhsa_user_sgpr_kernarg_preload_length 0
		.amdhsa_user_sgpr_kernarg_preload_offset 0
		.amdhsa_user_sgpr_private_segment_size 0
		.amdhsa_wavefront_size32 1
		.amdhsa_uses_dynamic_stack 0
		.amdhsa_enable_private_segment 0
		.amdhsa_system_sgpr_workgroup_id_x 1
		.amdhsa_system_sgpr_workgroup_id_y 0
		.amdhsa_system_sgpr_workgroup_id_z 0
		.amdhsa_system_sgpr_workgroup_info 0
		.amdhsa_system_vgpr_workitem_id 0
		.amdhsa_next_free_vgpr 26
		.amdhsa_next_free_sgpr 5
		.amdhsa_named_barrier_count 0
		.amdhsa_reserve_vcc 0
		.amdhsa_float_round_mode_32 0
		.amdhsa_float_round_mode_16_64 0
		.amdhsa_float_denorm_mode_32 3
		.amdhsa_float_denorm_mode_16_64 3
		.amdhsa_fp16_overflow 0
		.amdhsa_memory_ordered 1
		.amdhsa_forward_progress 1
		.amdhsa_inst_pref_size 3
		.amdhsa_round_robin_scheduling 0
		.amdhsa_exception_fp_ieee_invalid_op 0
		.amdhsa_exception_fp_denorm_src 0
		.amdhsa_exception_fp_ieee_div_zero 0
		.amdhsa_exception_fp_ieee_overflow 0
		.amdhsa_exception_fp_ieee_underflow 0
		.amdhsa_exception_fp_ieee_inexact 0
		.amdhsa_exception_int_div_zero 0
	.end_amdhsa_kernel
	.section	.text._Z17warp_store_kernelILj256ELj32ELj64ELN6hipcub18WarpStoreAlgorithmE2EiEvPT3_,"axG",@progbits,_Z17warp_store_kernelILj256ELj32ELj64ELN6hipcub18WarpStoreAlgorithmE2EiEvPT3_,comdat
.Lfunc_end51:
	.size	_Z17warp_store_kernelILj256ELj32ELj64ELN6hipcub18WarpStoreAlgorithmE2EiEvPT3_, .Lfunc_end51-_Z17warp_store_kernelILj256ELj32ELj64ELN6hipcub18WarpStoreAlgorithmE2EiEvPT3_
                                        ; -- End function
	.set _Z17warp_store_kernelILj256ELj32ELj64ELN6hipcub18WarpStoreAlgorithmE2EiEvPT3_.num_vgpr, 26
	.set _Z17warp_store_kernelILj256ELj32ELj64ELN6hipcub18WarpStoreAlgorithmE2EiEvPT3_.num_agpr, 0
	.set _Z17warp_store_kernelILj256ELj32ELj64ELN6hipcub18WarpStoreAlgorithmE2EiEvPT3_.numbered_sgpr, 5
	.set _Z17warp_store_kernelILj256ELj32ELj64ELN6hipcub18WarpStoreAlgorithmE2EiEvPT3_.num_named_barrier, 0
	.set _Z17warp_store_kernelILj256ELj32ELj64ELN6hipcub18WarpStoreAlgorithmE2EiEvPT3_.private_seg_size, 0
	.set _Z17warp_store_kernelILj256ELj32ELj64ELN6hipcub18WarpStoreAlgorithmE2EiEvPT3_.uses_vcc, 0
	.set _Z17warp_store_kernelILj256ELj32ELj64ELN6hipcub18WarpStoreAlgorithmE2EiEvPT3_.uses_flat_scratch, 0
	.set _Z17warp_store_kernelILj256ELj32ELj64ELN6hipcub18WarpStoreAlgorithmE2EiEvPT3_.has_dyn_sized_stack, 0
	.set _Z17warp_store_kernelILj256ELj32ELj64ELN6hipcub18WarpStoreAlgorithmE2EiEvPT3_.has_recursion, 0
	.set _Z17warp_store_kernelILj256ELj32ELj64ELN6hipcub18WarpStoreAlgorithmE2EiEvPT3_.has_indirect_call, 0
	.section	.AMDGPU.csdata,"",@progbits
; Kernel info:
; codeLenInByte = 348
; TotalNumSgprs: 5
; NumVgprs: 26
; ScratchSize: 0
; MemoryBound: 1
; FloatMode: 240
; IeeeMode: 1
; LDSByteSize: 0 bytes/workgroup (compile time only)
; SGPRBlocks: 0
; VGPRBlocks: 1
; NumSGPRsForWavesPerEU: 5
; NumVGPRsForWavesPerEU: 26
; NamedBarCnt: 0
; Occupancy: 16
; WaveLimiterHint : 1
; COMPUTE_PGM_RSRC2:SCRATCH_EN: 0
; COMPUTE_PGM_RSRC2:USER_SGPR: 2
; COMPUTE_PGM_RSRC2:TRAP_HANDLER: 0
; COMPUTE_PGM_RSRC2:TGID_X_EN: 1
; COMPUTE_PGM_RSRC2:TGID_Y_EN: 0
; COMPUTE_PGM_RSRC2:TGID_Z_EN: 0
; COMPUTE_PGM_RSRC2:TIDIG_COMP_CNT: 0
	.section	.text._Z17warp_store_kernelILj256ELj32ELj64ELN6hipcub18WarpStoreAlgorithmE3EiEvPT3_,"axG",@progbits,_Z17warp_store_kernelILj256ELj32ELj64ELN6hipcub18WarpStoreAlgorithmE3EiEvPT3_,comdat
	.protected	_Z17warp_store_kernelILj256ELj32ELj64ELN6hipcub18WarpStoreAlgorithmE3EiEvPT3_ ; -- Begin function _Z17warp_store_kernelILj256ELj32ELj64ELN6hipcub18WarpStoreAlgorithmE3EiEvPT3_
	.globl	_Z17warp_store_kernelILj256ELj32ELj64ELN6hipcub18WarpStoreAlgorithmE3EiEvPT3_
	.p2align	8
	.type	_Z17warp_store_kernelILj256ELj32ELj64ELN6hipcub18WarpStoreAlgorithmE3EiEvPT3_,@function
_Z17warp_store_kernelILj256ELj32ELj64ELN6hipcub18WarpStoreAlgorithmE3EiEvPT3_: ; @_Z17warp_store_kernelILj256ELj32ELj64ELN6hipcub18WarpStoreAlgorithmE3EiEvPT3_
; %bb.0:
	s_load_b64 s[0:1], s[0:1], 0x0
	s_bfe_u32 s2, ttmp6, 0x4000c
	v_dual_mov_b32 v17, 0 :: v_dual_lshrrev_b32 v0, 6, v0
	s_add_co_i32 s2, s2, 1
	s_and_b32 s3, ttmp6, 15
	s_mul_i32 s2, ttmp9, s2
	s_getreg_b32 s4, hwreg(HW_REG_IB_STS2, 6, 4)
	s_add_co_i32 s3, s3, s2
	s_cmp_eq_u32 s4, 0
	v_dual_mov_b32 v1, 1 :: v_dual_lshlrev_b32 v20, 13, v0
	v_mbcnt_lo_u32_b32 v21, -1, 0
	s_cselect_b32 s2, ttmp9, s3
	v_dual_mov_b32 v2, 2 :: v_dual_mov_b32 v3, 3
	s_lshl_b32 s2, s2, 13
	s_delay_alu instid0(VALU_DEP_2)
	v_lshl_or_b32 v22, v21, 7, v20
	v_lshl_or_b32 v16, v0, 11, s2
	v_dual_mov_b32 v0, v17 :: v_dual_mov_b32 v4, 4
	v_dual_mov_b32 v5, 5 :: v_dual_mov_b32 v6, 6
	;; [unrolled: 1-line block ×6, first 2 shown]
	v_mov_b32_e32 v15, 15
	s_wait_kmcnt 0x0
	v_lshl_add_u64 v[18:19], v[16:17], 2, s[0:1]
	ds_store_b128 v22, v[0:3]
	ds_store_b128 v22, v[4:7] offset:16
	ds_store_b128 v22, v[8:11] offset:32
	;; [unrolled: 1-line block ×3, first 2 shown]
	v_dual_mov_b32 v13, 29 :: v_dual_lshlrev_b32 v16, 2, v21
	v_dual_mov_b32 v0, 16 :: v_dual_mov_b32 v1, 17
	v_dual_mov_b32 v2, 18 :: v_dual_mov_b32 v3, 19
	;; [unrolled: 1-line block ×5, first 2 shown]
	v_dual_mov_b32 v12, 28 :: v_dual_bitop2_b32 v32, v20, v16 bitop3:0x54
	v_dual_mov_b32 v5, 21 :: v_dual_mov_b32 v6, 22
	v_dual_mov_b32 v14, 30 :: v_dual_mov_b32 v15, 31
	ds_store_b128 v22, v[0:3] offset:64
	ds_store_b128 v22, v[4:7] offset:80
	;; [unrolled: 1-line block ×4, first 2 shown]
	; wave barrier
	ds_load_2addr_stride64_b32 v[0:1], v32 offset1:1
	ds_load_2addr_stride64_b32 v[2:3], v32 offset0:2 offset1:3
	ds_load_2addr_stride64_b32 v[4:5], v32 offset0:4 offset1:5
	ds_load_2addr_stride64_b32 v[6:7], v32 offset0:6 offset1:7
	ds_load_2addr_stride64_b32 v[8:9], v32 offset0:8 offset1:9
	ds_load_2addr_stride64_b32 v[10:11], v32 offset0:10 offset1:11
	ds_load_2addr_stride64_b32 v[12:13], v32 offset0:12 offset1:13
	ds_load_2addr_stride64_b32 v[14:15], v32 offset0:14 offset1:15
	v_add_nc_u64_e32 v[16:17], v[18:19], v[16:17]
	ds_load_2addr_stride64_b32 v[18:19], v32 offset0:16 offset1:17
	ds_load_2addr_stride64_b32 v[20:21], v32 offset0:18 offset1:19
	;; [unrolled: 1-line block ×8, first 2 shown]
	s_wait_dscnt 0xf
	s_clause 0x1
	global_store_b32 v[16:17], v0, off
	global_store_b32 v[16:17], v1, off offset:256
	s_wait_dscnt 0xe
	s_clause 0x1
	global_store_b32 v[16:17], v2, off offset:512
	global_store_b32 v[16:17], v3, off offset:768
	s_wait_dscnt 0xd
	s_clause 0x1
	global_store_b32 v[16:17], v4, off offset:1024
	;; [unrolled: 4-line block ×15, first 2 shown]
	global_store_b32 v[16:17], v33, off offset:7936
	s_endpgm
	.section	.rodata,"a",@progbits
	.p2align	6, 0x0
	.amdhsa_kernel _Z17warp_store_kernelILj256ELj32ELj64ELN6hipcub18WarpStoreAlgorithmE3EiEvPT3_
		.amdhsa_group_segment_fixed_size 32768
		.amdhsa_private_segment_fixed_size 0
		.amdhsa_kernarg_size 8
		.amdhsa_user_sgpr_count 2
		.amdhsa_user_sgpr_dispatch_ptr 0
		.amdhsa_user_sgpr_queue_ptr 0
		.amdhsa_user_sgpr_kernarg_segment_ptr 1
		.amdhsa_user_sgpr_dispatch_id 0
		.amdhsa_user_sgpr_kernarg_preload_length 0
		.amdhsa_user_sgpr_kernarg_preload_offset 0
		.amdhsa_user_sgpr_private_segment_size 0
		.amdhsa_wavefront_size32 1
		.amdhsa_uses_dynamic_stack 0
		.amdhsa_enable_private_segment 0
		.amdhsa_system_sgpr_workgroup_id_x 1
		.amdhsa_system_sgpr_workgroup_id_y 0
		.amdhsa_system_sgpr_workgroup_id_z 0
		.amdhsa_system_sgpr_workgroup_info 0
		.amdhsa_system_vgpr_workitem_id 0
		.amdhsa_next_free_vgpr 34
		.amdhsa_next_free_sgpr 5
		.amdhsa_named_barrier_count 0
		.amdhsa_reserve_vcc 0
		.amdhsa_float_round_mode_32 0
		.amdhsa_float_round_mode_16_64 0
		.amdhsa_float_denorm_mode_32 3
		.amdhsa_float_denorm_mode_16_64 3
		.amdhsa_fp16_overflow 0
		.amdhsa_memory_ordered 1
		.amdhsa_forward_progress 1
		.amdhsa_inst_pref_size 8
		.amdhsa_round_robin_scheduling 0
		.amdhsa_exception_fp_ieee_invalid_op 0
		.amdhsa_exception_fp_denorm_src 0
		.amdhsa_exception_fp_ieee_div_zero 0
		.amdhsa_exception_fp_ieee_overflow 0
		.amdhsa_exception_fp_ieee_underflow 0
		.amdhsa_exception_fp_ieee_inexact 0
		.amdhsa_exception_int_div_zero 0
	.end_amdhsa_kernel
	.section	.text._Z17warp_store_kernelILj256ELj32ELj64ELN6hipcub18WarpStoreAlgorithmE3EiEvPT3_,"axG",@progbits,_Z17warp_store_kernelILj256ELj32ELj64ELN6hipcub18WarpStoreAlgorithmE3EiEvPT3_,comdat
.Lfunc_end52:
	.size	_Z17warp_store_kernelILj256ELj32ELj64ELN6hipcub18WarpStoreAlgorithmE3EiEvPT3_, .Lfunc_end52-_Z17warp_store_kernelILj256ELj32ELj64ELN6hipcub18WarpStoreAlgorithmE3EiEvPT3_
                                        ; -- End function
	.set _Z17warp_store_kernelILj256ELj32ELj64ELN6hipcub18WarpStoreAlgorithmE3EiEvPT3_.num_vgpr, 34
	.set _Z17warp_store_kernelILj256ELj32ELj64ELN6hipcub18WarpStoreAlgorithmE3EiEvPT3_.num_agpr, 0
	.set _Z17warp_store_kernelILj256ELj32ELj64ELN6hipcub18WarpStoreAlgorithmE3EiEvPT3_.numbered_sgpr, 5
	.set _Z17warp_store_kernelILj256ELj32ELj64ELN6hipcub18WarpStoreAlgorithmE3EiEvPT3_.num_named_barrier, 0
	.set _Z17warp_store_kernelILj256ELj32ELj64ELN6hipcub18WarpStoreAlgorithmE3EiEvPT3_.private_seg_size, 0
	.set _Z17warp_store_kernelILj256ELj32ELj64ELN6hipcub18WarpStoreAlgorithmE3EiEvPT3_.uses_vcc, 0
	.set _Z17warp_store_kernelILj256ELj32ELj64ELN6hipcub18WarpStoreAlgorithmE3EiEvPT3_.uses_flat_scratch, 0
	.set _Z17warp_store_kernelILj256ELj32ELj64ELN6hipcub18WarpStoreAlgorithmE3EiEvPT3_.has_dyn_sized_stack, 0
	.set _Z17warp_store_kernelILj256ELj32ELj64ELN6hipcub18WarpStoreAlgorithmE3EiEvPT3_.has_recursion, 0
	.set _Z17warp_store_kernelILj256ELj32ELj64ELN6hipcub18WarpStoreAlgorithmE3EiEvPT3_.has_indirect_call, 0
	.section	.AMDGPU.csdata,"",@progbits
; Kernel info:
; codeLenInByte = 956
; TotalNumSgprs: 5
; NumVgprs: 34
; ScratchSize: 0
; MemoryBound: 1
; FloatMode: 240
; IeeeMode: 1
; LDSByteSize: 32768 bytes/workgroup (compile time only)
; SGPRBlocks: 0
; VGPRBlocks: 2
; NumSGPRsForWavesPerEU: 5
; NumVGPRsForWavesPerEU: 34
; NamedBarCnt: 0
; Occupancy: 16
; WaveLimiterHint : 1
; COMPUTE_PGM_RSRC2:SCRATCH_EN: 0
; COMPUTE_PGM_RSRC2:USER_SGPR: 2
; COMPUTE_PGM_RSRC2:TRAP_HANDLER: 0
; COMPUTE_PGM_RSRC2:TGID_X_EN: 1
; COMPUTE_PGM_RSRC2:TGID_Y_EN: 0
; COMPUTE_PGM_RSRC2:TGID_Z_EN: 0
; COMPUTE_PGM_RSRC2:TIDIG_COMP_CNT: 0
	.section	.text._Z17warp_store_kernelILj256ELj64ELj64ELN6hipcub18WarpStoreAlgorithmE0EiEvPT3_,"axG",@progbits,_Z17warp_store_kernelILj256ELj64ELj64ELN6hipcub18WarpStoreAlgorithmE0EiEvPT3_,comdat
	.protected	_Z17warp_store_kernelILj256ELj64ELj64ELN6hipcub18WarpStoreAlgorithmE0EiEvPT3_ ; -- Begin function _Z17warp_store_kernelILj256ELj64ELj64ELN6hipcub18WarpStoreAlgorithmE0EiEvPT3_
	.globl	_Z17warp_store_kernelILj256ELj64ELj64ELN6hipcub18WarpStoreAlgorithmE0EiEvPT3_
	.p2align	8
	.type	_Z17warp_store_kernelILj256ELj64ELj64ELN6hipcub18WarpStoreAlgorithmE0EiEvPT3_,@function
_Z17warp_store_kernelILj256ELj64ELj64ELN6hipcub18WarpStoreAlgorithmE0EiEvPT3_: ; @_Z17warp_store_kernelILj256ELj64ELj64ELN6hipcub18WarpStoreAlgorithmE0EiEvPT3_
; %bb.0:
	s_load_b64 s[0:1], s[0:1], 0x0
	s_bfe_u32 s2, ttmp6, 0x4000c
	s_and_b32 s3, ttmp6, 15
	s_add_co_i32 s2, s2, 1
	s_getreg_b32 s4, hwreg(HW_REG_IB_STS2, 6, 4)
	s_mul_i32 s2, ttmp9, s2
	v_dual_mov_b32 v11, 0 :: v_dual_lshlrev_b32 v0, 6, v0
	s_add_co_i32 s3, s3, s2
	s_cmp_eq_u32 s4, 0
	v_mbcnt_lo_u32_b32 v6, -1, 0
	s_cselect_b32 s2, ttmp9, s3
	v_mov_b32_e32 v5, 5
	s_lshl_b32 s2, s2, 14
	v_dual_mov_b32 v1, 1 :: v_dual_mov_b32 v2, 2
	v_and_or_b32 v10, 0x3000, v0, s2
	v_dual_mov_b32 v3, 3 :: v_dual_mov_b32 v4, 4
	v_dual_mov_b32 v8, 8 :: v_dual_mov_b32 v0, v11
	s_wait_kmcnt 0x0
	s_delay_alu instid0(VALU_DEP_3) | instskip(SKIP_3) | instid1(VALU_DEP_3)
	v_lshl_add_u64 v[12:13], v[10:11], 2, s[0:1]
	v_dual_lshlrev_b32 v10, 8, v6 :: v_dual_mov_b32 v6, 6
	v_dual_mov_b32 v7, 7 :: v_dual_mov_b32 v9, 9
	v_mov_b32_e32 v14, 14
	v_add_nc_u64_e32 v[24:25], v[12:13], v[10:11]
	v_dual_mov_b32 v10, 10 :: v_dual_mov_b32 v11, 11
	v_dual_mov_b32 v12, 12 :: v_dual_mov_b32 v13, 13
	v_mov_b32_e32 v15, 15
	s_clause 0x3
	global_store_b128 v[24:25], v[0:3], off
	global_store_b128 v[24:25], v[4:7], off offset:16
	global_store_b128 v[24:25], v[8:11], off offset:32
	;; [unrolled: 1-line block ×3, first 2 shown]
	s_wait_xcnt 0x3
	v_dual_mov_b32 v0, 16 :: v_dual_mov_b32 v1, 17
	v_dual_mov_b32 v2, 18 :: v_dual_mov_b32 v3, 19
	s_wait_xcnt 0x2
	v_dual_mov_b32 v4, 20 :: v_dual_mov_b32 v5, 21
	v_dual_mov_b32 v6, 22 :: v_dual_mov_b32 v7, 23
	;; [unrolled: 3-line block ×4, first 2 shown]
	v_dual_mov_b32 v16, 32 :: v_dual_mov_b32 v17, 33
	v_dual_mov_b32 v18, 34 :: v_dual_mov_b32 v19, 35
	;; [unrolled: 1-line block ×4, first 2 shown]
	s_clause 0x5
	global_store_b128 v[24:25], v[0:3], off offset:64
	global_store_b128 v[24:25], v[4:7], off offset:80
	;; [unrolled: 1-line block ×6, first 2 shown]
	s_wait_xcnt 0x5
	v_dual_mov_b32 v0, 40 :: v_dual_mov_b32 v1, 41
	v_dual_mov_b32 v2, 42 :: v_dual_mov_b32 v3, 43
	s_wait_xcnt 0x4
	v_dual_mov_b32 v4, 44 :: v_dual_mov_b32 v5, 45
	v_dual_mov_b32 v6, 46 :: v_dual_mov_b32 v7, 47
	;; [unrolled: 3-line block ×6, first 2 shown]
	s_clause 0x5
	global_store_b128 v[24:25], v[0:3], off offset:160
	global_store_b128 v[24:25], v[4:7], off offset:176
	;; [unrolled: 1-line block ×6, first 2 shown]
	s_endpgm
	.section	.rodata,"a",@progbits
	.p2align	6, 0x0
	.amdhsa_kernel _Z17warp_store_kernelILj256ELj64ELj64ELN6hipcub18WarpStoreAlgorithmE0EiEvPT3_
		.amdhsa_group_segment_fixed_size 0
		.amdhsa_private_segment_fixed_size 0
		.amdhsa_kernarg_size 8
		.amdhsa_user_sgpr_count 2
		.amdhsa_user_sgpr_dispatch_ptr 0
		.amdhsa_user_sgpr_queue_ptr 0
		.amdhsa_user_sgpr_kernarg_segment_ptr 1
		.amdhsa_user_sgpr_dispatch_id 0
		.amdhsa_user_sgpr_kernarg_preload_length 0
		.amdhsa_user_sgpr_kernarg_preload_offset 0
		.amdhsa_user_sgpr_private_segment_size 0
		.amdhsa_wavefront_size32 1
		.amdhsa_uses_dynamic_stack 0
		.amdhsa_enable_private_segment 0
		.amdhsa_system_sgpr_workgroup_id_x 1
		.amdhsa_system_sgpr_workgroup_id_y 0
		.amdhsa_system_sgpr_workgroup_id_z 0
		.amdhsa_system_sgpr_workgroup_info 0
		.amdhsa_system_vgpr_workitem_id 0
		.amdhsa_next_free_vgpr 26
		.amdhsa_next_free_sgpr 5
		.amdhsa_named_barrier_count 0
		.amdhsa_reserve_vcc 0
		.amdhsa_float_round_mode_32 0
		.amdhsa_float_round_mode_16_64 0
		.amdhsa_float_denorm_mode_32 3
		.amdhsa_float_denorm_mode_16_64 3
		.amdhsa_fp16_overflow 0
		.amdhsa_memory_ordered 1
		.amdhsa_forward_progress 1
		.amdhsa_inst_pref_size 5
		.amdhsa_round_robin_scheduling 0
		.amdhsa_exception_fp_ieee_invalid_op 0
		.amdhsa_exception_fp_denorm_src 0
		.amdhsa_exception_fp_ieee_div_zero 0
		.amdhsa_exception_fp_ieee_overflow 0
		.amdhsa_exception_fp_ieee_underflow 0
		.amdhsa_exception_fp_ieee_inexact 0
		.amdhsa_exception_int_div_zero 0
	.end_amdhsa_kernel
	.section	.text._Z17warp_store_kernelILj256ELj64ELj64ELN6hipcub18WarpStoreAlgorithmE0EiEvPT3_,"axG",@progbits,_Z17warp_store_kernelILj256ELj64ELj64ELN6hipcub18WarpStoreAlgorithmE0EiEvPT3_,comdat
.Lfunc_end53:
	.size	_Z17warp_store_kernelILj256ELj64ELj64ELN6hipcub18WarpStoreAlgorithmE0EiEvPT3_, .Lfunc_end53-_Z17warp_store_kernelILj256ELj64ELj64ELN6hipcub18WarpStoreAlgorithmE0EiEvPT3_
                                        ; -- End function
	.set _Z17warp_store_kernelILj256ELj64ELj64ELN6hipcub18WarpStoreAlgorithmE0EiEvPT3_.num_vgpr, 26
	.set _Z17warp_store_kernelILj256ELj64ELj64ELN6hipcub18WarpStoreAlgorithmE0EiEvPT3_.num_agpr, 0
	.set _Z17warp_store_kernelILj256ELj64ELj64ELN6hipcub18WarpStoreAlgorithmE0EiEvPT3_.numbered_sgpr, 5
	.set _Z17warp_store_kernelILj256ELj64ELj64ELN6hipcub18WarpStoreAlgorithmE0EiEvPT3_.num_named_barrier, 0
	.set _Z17warp_store_kernelILj256ELj64ELj64ELN6hipcub18WarpStoreAlgorithmE0EiEvPT3_.private_seg_size, 0
	.set _Z17warp_store_kernelILj256ELj64ELj64ELN6hipcub18WarpStoreAlgorithmE0EiEvPT3_.uses_vcc, 0
	.set _Z17warp_store_kernelILj256ELj64ELj64ELN6hipcub18WarpStoreAlgorithmE0EiEvPT3_.uses_flat_scratch, 0
	.set _Z17warp_store_kernelILj256ELj64ELj64ELN6hipcub18WarpStoreAlgorithmE0EiEvPT3_.has_dyn_sized_stack, 0
	.set _Z17warp_store_kernelILj256ELj64ELj64ELN6hipcub18WarpStoreAlgorithmE0EiEvPT3_.has_recursion, 0
	.set _Z17warp_store_kernelILj256ELj64ELj64ELN6hipcub18WarpStoreAlgorithmE0EiEvPT3_.has_indirect_call, 0
	.section	.AMDGPU.csdata,"",@progbits
; Kernel info:
; codeLenInByte = 616
; TotalNumSgprs: 5
; NumVgprs: 26
; ScratchSize: 0
; MemoryBound: 1
; FloatMode: 240
; IeeeMode: 1
; LDSByteSize: 0 bytes/workgroup (compile time only)
; SGPRBlocks: 0
; VGPRBlocks: 1
; NumSGPRsForWavesPerEU: 5
; NumVGPRsForWavesPerEU: 26
; NamedBarCnt: 0
; Occupancy: 16
; WaveLimiterHint : 1
; COMPUTE_PGM_RSRC2:SCRATCH_EN: 0
; COMPUTE_PGM_RSRC2:USER_SGPR: 2
; COMPUTE_PGM_RSRC2:TRAP_HANDLER: 0
; COMPUTE_PGM_RSRC2:TGID_X_EN: 1
; COMPUTE_PGM_RSRC2:TGID_Y_EN: 0
; COMPUTE_PGM_RSRC2:TGID_Z_EN: 0
; COMPUTE_PGM_RSRC2:TIDIG_COMP_CNT: 0
	.section	.text._Z17warp_store_kernelILj256ELj64ELj64ELN6hipcub18WarpStoreAlgorithmE1EiEvPT3_,"axG",@progbits,_Z17warp_store_kernelILj256ELj64ELj64ELN6hipcub18WarpStoreAlgorithmE1EiEvPT3_,comdat
	.protected	_Z17warp_store_kernelILj256ELj64ELj64ELN6hipcub18WarpStoreAlgorithmE1EiEvPT3_ ; -- Begin function _Z17warp_store_kernelILj256ELj64ELj64ELN6hipcub18WarpStoreAlgorithmE1EiEvPT3_
	.globl	_Z17warp_store_kernelILj256ELj64ELj64ELN6hipcub18WarpStoreAlgorithmE1EiEvPT3_
	.p2align	8
	.type	_Z17warp_store_kernelILj256ELj64ELj64ELN6hipcub18WarpStoreAlgorithmE1EiEvPT3_,@function
_Z17warp_store_kernelILj256ELj64ELj64ELN6hipcub18WarpStoreAlgorithmE1EiEvPT3_: ; @_Z17warp_store_kernelILj256ELj64ELj64ELN6hipcub18WarpStoreAlgorithmE1EiEvPT3_
; %bb.0:
	s_load_b64 s[0:1], s[0:1], 0x0
	s_bfe_u32 s2, ttmp6, 0x4000c
	s_and_b32 s3, ttmp6, 15
	s_add_co_i32 s2, s2, 1
	s_getreg_b32 s4, hwreg(HW_REG_IB_STS2, 6, 4)
	s_mul_i32 s2, ttmp9, s2
	v_dual_mov_b32 v1, 0 :: v_dual_lshlrev_b32 v0, 6, v0
	s_add_co_i32 s3, s3, s2
	s_cmp_eq_u32 s4, 0
	v_mbcnt_lo_u32_b32 v4, -1, 0
	s_cselect_b32 s2, ttmp9, s3
	v_mov_b32_e32 v5, 2
	s_lshl_b32 s2, s2, 14
	v_dual_mov_b32 v6, 3 :: v_dual_mov_b32 v7, 4
	v_and_or_b32 v0, 0x3000, v0, s2
	v_dual_mov_b32 v10, 8 :: v_dual_mov_b32 v8, 5
	v_mov_b32_e32 v9, 7
	s_wait_kmcnt 0x0
	s_delay_alu instid0(VALU_DEP_3) | instskip(SKIP_1) | instid1(VALU_DEP_1)
	v_lshl_add_u64 v[2:3], v[0:1], 2, s[0:1]
	v_dual_lshlrev_b32 v0, 2, v4 :: v_dual_mov_b32 v4, 6
	v_add_nc_u64_e32 v[2:3], v[2:3], v[0:1]
	v_mov_b32_e32 v0, 1
	s_clause 0x7
	global_store_b32 v[2:3], v1, off
	global_store_b32 v[2:3], v0, off offset:256
	global_store_b32 v[2:3], v5, off offset:512
	global_store_b32 v[2:3], v6, off offset:768
	global_store_b32 v[2:3], v7, off offset:1024
	global_store_b32 v[2:3], v8, off offset:1280
	global_store_b32 v[2:3], v4, off offset:1536
	global_store_b32 v[2:3], v9, off offset:1792
	s_wait_xcnt 0x6
	v_dual_mov_b32 v0, 9 :: v_dual_mov_b32 v1, 10
	s_wait_xcnt 0x1
	v_dual_mov_b32 v4, 11 :: v_dual_mov_b32 v5, 12
	v_dual_mov_b32 v6, 13 :: v_dual_mov_b32 v7, 14
	v_mov_b32_e32 v8, 15
	s_clause 0x7
	global_store_b32 v[2:3], v10, off offset:2048
	global_store_b32 v[2:3], v0, off offset:2304
	global_store_b32 v[2:3], v1, off offset:2560
	global_store_b32 v[2:3], v4, off offset:2816
	global_store_b32 v[2:3], v5, off offset:3072
	global_store_b32 v[2:3], v6, off offset:3328
	global_store_b32 v[2:3], v7, off offset:3584
	global_store_b32 v[2:3], v8, off offset:3840
	s_wait_xcnt 0x5
	v_dual_mov_b32 v0, 16 :: v_dual_mov_b32 v1, 17
	s_wait_xcnt 0x3
	v_dual_mov_b32 v4, 18 :: v_dual_mov_b32 v5, 19
	s_wait_xcnt 0x1
	v_dual_mov_b32 v6, 20 :: v_dual_mov_b32 v7, 21
	s_wait_xcnt 0x0
	v_dual_mov_b32 v8, 22 :: v_dual_mov_b32 v9, 23
	s_clause 0x7
	global_store_b32 v[2:3], v0, off offset:4096
	global_store_b32 v[2:3], v1, off offset:4352
	global_store_b32 v[2:3], v4, off offset:4608
	global_store_b32 v[2:3], v5, off offset:4864
	global_store_b32 v[2:3], v6, off offset:5120
	global_store_b32 v[2:3], v7, off offset:5376
	global_store_b32 v[2:3], v8, off offset:5632
	global_store_b32 v[2:3], v9, off offset:5888
	s_wait_xcnt 0x6
	v_dual_mov_b32 v0, 24 :: v_dual_mov_b32 v1, 25
	s_wait_xcnt 0x4
	v_dual_mov_b32 v4, 26 :: v_dual_mov_b32 v5, 27
	s_wait_xcnt 0x2
	v_dual_mov_b32 v6, 28 :: v_dual_mov_b32 v7, 29
	s_wait_xcnt 0x0
	v_dual_mov_b32 v8, 30 :: v_dual_mov_b32 v9, 31
	;; [unrolled: 17-line block ×6, first 2 shown]
	s_clause 0x7
	global_store_b32 v[2:3], v0, off offset:14336
	global_store_b32 v[2:3], v1, off offset:14592
	;; [unrolled: 1-line block ×8, first 2 shown]
	s_endpgm
	.section	.rodata,"a",@progbits
	.p2align	6, 0x0
	.amdhsa_kernel _Z17warp_store_kernelILj256ELj64ELj64ELN6hipcub18WarpStoreAlgorithmE1EiEvPT3_
		.amdhsa_group_segment_fixed_size 0
		.amdhsa_private_segment_fixed_size 0
		.amdhsa_kernarg_size 8
		.amdhsa_user_sgpr_count 2
		.amdhsa_user_sgpr_dispatch_ptr 0
		.amdhsa_user_sgpr_queue_ptr 0
		.amdhsa_user_sgpr_kernarg_segment_ptr 1
		.amdhsa_user_sgpr_dispatch_id 0
		.amdhsa_user_sgpr_kernarg_preload_length 0
		.amdhsa_user_sgpr_kernarg_preload_offset 0
		.amdhsa_user_sgpr_private_segment_size 0
		.amdhsa_wavefront_size32 1
		.amdhsa_uses_dynamic_stack 0
		.amdhsa_enable_private_segment 0
		.amdhsa_system_sgpr_workgroup_id_x 1
		.amdhsa_system_sgpr_workgroup_id_y 0
		.amdhsa_system_sgpr_workgroup_id_z 0
		.amdhsa_system_sgpr_workgroup_info 0
		.amdhsa_system_vgpr_workitem_id 0
		.amdhsa_next_free_vgpr 11
		.amdhsa_next_free_sgpr 5
		.amdhsa_named_barrier_count 0
		.amdhsa_reserve_vcc 0
		.amdhsa_float_round_mode_32 0
		.amdhsa_float_round_mode_16_64 0
		.amdhsa_float_denorm_mode_32 3
		.amdhsa_float_denorm_mode_16_64 3
		.amdhsa_fp16_overflow 0
		.amdhsa_memory_ordered 1
		.amdhsa_forward_progress 1
		.amdhsa_inst_pref_size 10
		.amdhsa_round_robin_scheduling 0
		.amdhsa_exception_fp_ieee_invalid_op 0
		.amdhsa_exception_fp_denorm_src 0
		.amdhsa_exception_fp_ieee_div_zero 0
		.amdhsa_exception_fp_ieee_overflow 0
		.amdhsa_exception_fp_ieee_underflow 0
		.amdhsa_exception_fp_ieee_inexact 0
		.amdhsa_exception_int_div_zero 0
	.end_amdhsa_kernel
	.section	.text._Z17warp_store_kernelILj256ELj64ELj64ELN6hipcub18WarpStoreAlgorithmE1EiEvPT3_,"axG",@progbits,_Z17warp_store_kernelILj256ELj64ELj64ELN6hipcub18WarpStoreAlgorithmE1EiEvPT3_,comdat
.Lfunc_end54:
	.size	_Z17warp_store_kernelILj256ELj64ELj64ELN6hipcub18WarpStoreAlgorithmE1EiEvPT3_, .Lfunc_end54-_Z17warp_store_kernelILj256ELj64ELj64ELN6hipcub18WarpStoreAlgorithmE1EiEvPT3_
                                        ; -- End function
	.set _Z17warp_store_kernelILj256ELj64ELj64ELN6hipcub18WarpStoreAlgorithmE1EiEvPT3_.num_vgpr, 11
	.set _Z17warp_store_kernelILj256ELj64ELj64ELN6hipcub18WarpStoreAlgorithmE1EiEvPT3_.num_agpr, 0
	.set _Z17warp_store_kernelILj256ELj64ELj64ELN6hipcub18WarpStoreAlgorithmE1EiEvPT3_.numbered_sgpr, 5
	.set _Z17warp_store_kernelILj256ELj64ELj64ELN6hipcub18WarpStoreAlgorithmE1EiEvPT3_.num_named_barrier, 0
	.set _Z17warp_store_kernelILj256ELj64ELj64ELN6hipcub18WarpStoreAlgorithmE1EiEvPT3_.private_seg_size, 0
	.set _Z17warp_store_kernelILj256ELj64ELj64ELN6hipcub18WarpStoreAlgorithmE1EiEvPT3_.uses_vcc, 0
	.set _Z17warp_store_kernelILj256ELj64ELj64ELN6hipcub18WarpStoreAlgorithmE1EiEvPT3_.uses_flat_scratch, 0
	.set _Z17warp_store_kernelILj256ELj64ELj64ELN6hipcub18WarpStoreAlgorithmE1EiEvPT3_.has_dyn_sized_stack, 0
	.set _Z17warp_store_kernelILj256ELj64ELj64ELN6hipcub18WarpStoreAlgorithmE1EiEvPT3_.has_recursion, 0
	.set _Z17warp_store_kernelILj256ELj64ELj64ELN6hipcub18WarpStoreAlgorithmE1EiEvPT3_.has_indirect_call, 0
	.section	.AMDGPU.csdata,"",@progbits
; Kernel info:
; codeLenInByte = 1268
; TotalNumSgprs: 5
; NumVgprs: 11
; ScratchSize: 0
; MemoryBound: 1
; FloatMode: 240
; IeeeMode: 1
; LDSByteSize: 0 bytes/workgroup (compile time only)
; SGPRBlocks: 0
; VGPRBlocks: 0
; NumSGPRsForWavesPerEU: 5
; NumVGPRsForWavesPerEU: 11
; NamedBarCnt: 0
; Occupancy: 16
; WaveLimiterHint : 1
; COMPUTE_PGM_RSRC2:SCRATCH_EN: 0
; COMPUTE_PGM_RSRC2:USER_SGPR: 2
; COMPUTE_PGM_RSRC2:TRAP_HANDLER: 0
; COMPUTE_PGM_RSRC2:TGID_X_EN: 1
; COMPUTE_PGM_RSRC2:TGID_Y_EN: 0
; COMPUTE_PGM_RSRC2:TGID_Z_EN: 0
; COMPUTE_PGM_RSRC2:TIDIG_COMP_CNT: 0
	.section	.text._Z17warp_store_kernelILj256ELj64ELj64ELN6hipcub18WarpStoreAlgorithmE2EiEvPT3_,"axG",@progbits,_Z17warp_store_kernelILj256ELj64ELj64ELN6hipcub18WarpStoreAlgorithmE2EiEvPT3_,comdat
	.protected	_Z17warp_store_kernelILj256ELj64ELj64ELN6hipcub18WarpStoreAlgorithmE2EiEvPT3_ ; -- Begin function _Z17warp_store_kernelILj256ELj64ELj64ELN6hipcub18WarpStoreAlgorithmE2EiEvPT3_
	.globl	_Z17warp_store_kernelILj256ELj64ELj64ELN6hipcub18WarpStoreAlgorithmE2EiEvPT3_
	.p2align	8
	.type	_Z17warp_store_kernelILj256ELj64ELj64ELN6hipcub18WarpStoreAlgorithmE2EiEvPT3_,@function
_Z17warp_store_kernelILj256ELj64ELj64ELN6hipcub18WarpStoreAlgorithmE2EiEvPT3_: ; @_Z17warp_store_kernelILj256ELj64ELj64ELN6hipcub18WarpStoreAlgorithmE2EiEvPT3_
; %bb.0:
	s_load_b64 s[0:1], s[0:1], 0x0
	s_bfe_u32 s2, ttmp6, 0x4000c
	s_and_b32 s3, ttmp6, 15
	s_add_co_i32 s2, s2, 1
	s_getreg_b32 s4, hwreg(HW_REG_IB_STS2, 6, 4)
	s_mul_i32 s2, ttmp9, s2
	v_dual_mov_b32 v11, 0 :: v_dual_lshlrev_b32 v0, 6, v0
	s_add_co_i32 s3, s3, s2
	s_cmp_eq_u32 s4, 0
	v_mbcnt_lo_u32_b32 v6, -1, 0
	s_cselect_b32 s2, ttmp9, s3
	v_mov_b32_e32 v5, 5
	s_lshl_b32 s2, s2, 14
	v_dual_mov_b32 v1, 1 :: v_dual_mov_b32 v2, 2
	v_and_or_b32 v10, 0x3000, v0, s2
	v_dual_mov_b32 v3, 3 :: v_dual_mov_b32 v4, 4
	v_dual_mov_b32 v8, 8 :: v_dual_mov_b32 v0, v11
	s_wait_kmcnt 0x0
	s_delay_alu instid0(VALU_DEP_3) | instskip(SKIP_3) | instid1(VALU_DEP_3)
	v_lshl_add_u64 v[12:13], v[10:11], 2, s[0:1]
	v_dual_lshlrev_b32 v10, 8, v6 :: v_dual_mov_b32 v6, 6
	v_dual_mov_b32 v7, 7 :: v_dual_mov_b32 v9, 9
	v_mov_b32_e32 v14, 14
	v_add_nc_u64_e32 v[24:25], v[12:13], v[10:11]
	v_dual_mov_b32 v10, 10 :: v_dual_mov_b32 v11, 11
	v_dual_mov_b32 v12, 12 :: v_dual_mov_b32 v13, 13
	v_mov_b32_e32 v15, 15
	s_clause 0x3
	global_store_b128 v[24:25], v[0:3], off
	global_store_b128 v[24:25], v[4:7], off offset:16
	global_store_b128 v[24:25], v[8:11], off offset:32
	;; [unrolled: 1-line block ×3, first 2 shown]
	s_wait_xcnt 0x3
	v_dual_mov_b32 v0, 16 :: v_dual_mov_b32 v1, 17
	v_dual_mov_b32 v2, 18 :: v_dual_mov_b32 v3, 19
	s_wait_xcnt 0x2
	v_dual_mov_b32 v4, 20 :: v_dual_mov_b32 v5, 21
	v_dual_mov_b32 v6, 22 :: v_dual_mov_b32 v7, 23
	;; [unrolled: 3-line block ×4, first 2 shown]
	v_dual_mov_b32 v16, 32 :: v_dual_mov_b32 v17, 33
	v_dual_mov_b32 v18, 34 :: v_dual_mov_b32 v19, 35
	;; [unrolled: 1-line block ×4, first 2 shown]
	s_clause 0x5
	global_store_b128 v[24:25], v[0:3], off offset:64
	global_store_b128 v[24:25], v[4:7], off offset:80
	;; [unrolled: 1-line block ×6, first 2 shown]
	s_wait_xcnt 0x5
	v_dual_mov_b32 v0, 40 :: v_dual_mov_b32 v1, 41
	v_dual_mov_b32 v2, 42 :: v_dual_mov_b32 v3, 43
	s_wait_xcnt 0x4
	v_dual_mov_b32 v4, 44 :: v_dual_mov_b32 v5, 45
	v_dual_mov_b32 v6, 46 :: v_dual_mov_b32 v7, 47
	;; [unrolled: 3-line block ×6, first 2 shown]
	s_clause 0x5
	global_store_b128 v[24:25], v[0:3], off offset:160
	global_store_b128 v[24:25], v[4:7], off offset:176
	;; [unrolled: 1-line block ×6, first 2 shown]
	s_endpgm
	.section	.rodata,"a",@progbits
	.p2align	6, 0x0
	.amdhsa_kernel _Z17warp_store_kernelILj256ELj64ELj64ELN6hipcub18WarpStoreAlgorithmE2EiEvPT3_
		.amdhsa_group_segment_fixed_size 0
		.amdhsa_private_segment_fixed_size 0
		.amdhsa_kernarg_size 8
		.amdhsa_user_sgpr_count 2
		.amdhsa_user_sgpr_dispatch_ptr 0
		.amdhsa_user_sgpr_queue_ptr 0
		.amdhsa_user_sgpr_kernarg_segment_ptr 1
		.amdhsa_user_sgpr_dispatch_id 0
		.amdhsa_user_sgpr_kernarg_preload_length 0
		.amdhsa_user_sgpr_kernarg_preload_offset 0
		.amdhsa_user_sgpr_private_segment_size 0
		.amdhsa_wavefront_size32 1
		.amdhsa_uses_dynamic_stack 0
		.amdhsa_enable_private_segment 0
		.amdhsa_system_sgpr_workgroup_id_x 1
		.amdhsa_system_sgpr_workgroup_id_y 0
		.amdhsa_system_sgpr_workgroup_id_z 0
		.amdhsa_system_sgpr_workgroup_info 0
		.amdhsa_system_vgpr_workitem_id 0
		.amdhsa_next_free_vgpr 26
		.amdhsa_next_free_sgpr 5
		.amdhsa_named_barrier_count 0
		.amdhsa_reserve_vcc 0
		.amdhsa_float_round_mode_32 0
		.amdhsa_float_round_mode_16_64 0
		.amdhsa_float_denorm_mode_32 3
		.amdhsa_float_denorm_mode_16_64 3
		.amdhsa_fp16_overflow 0
		.amdhsa_memory_ordered 1
		.amdhsa_forward_progress 1
		.amdhsa_inst_pref_size 5
		.amdhsa_round_robin_scheduling 0
		.amdhsa_exception_fp_ieee_invalid_op 0
		.amdhsa_exception_fp_denorm_src 0
		.amdhsa_exception_fp_ieee_div_zero 0
		.amdhsa_exception_fp_ieee_overflow 0
		.amdhsa_exception_fp_ieee_underflow 0
		.amdhsa_exception_fp_ieee_inexact 0
		.amdhsa_exception_int_div_zero 0
	.end_amdhsa_kernel
	.section	.text._Z17warp_store_kernelILj256ELj64ELj64ELN6hipcub18WarpStoreAlgorithmE2EiEvPT3_,"axG",@progbits,_Z17warp_store_kernelILj256ELj64ELj64ELN6hipcub18WarpStoreAlgorithmE2EiEvPT3_,comdat
.Lfunc_end55:
	.size	_Z17warp_store_kernelILj256ELj64ELj64ELN6hipcub18WarpStoreAlgorithmE2EiEvPT3_, .Lfunc_end55-_Z17warp_store_kernelILj256ELj64ELj64ELN6hipcub18WarpStoreAlgorithmE2EiEvPT3_
                                        ; -- End function
	.set _Z17warp_store_kernelILj256ELj64ELj64ELN6hipcub18WarpStoreAlgorithmE2EiEvPT3_.num_vgpr, 26
	.set _Z17warp_store_kernelILj256ELj64ELj64ELN6hipcub18WarpStoreAlgorithmE2EiEvPT3_.num_agpr, 0
	.set _Z17warp_store_kernelILj256ELj64ELj64ELN6hipcub18WarpStoreAlgorithmE2EiEvPT3_.numbered_sgpr, 5
	.set _Z17warp_store_kernelILj256ELj64ELj64ELN6hipcub18WarpStoreAlgorithmE2EiEvPT3_.num_named_barrier, 0
	.set _Z17warp_store_kernelILj256ELj64ELj64ELN6hipcub18WarpStoreAlgorithmE2EiEvPT3_.private_seg_size, 0
	.set _Z17warp_store_kernelILj256ELj64ELj64ELN6hipcub18WarpStoreAlgorithmE2EiEvPT3_.uses_vcc, 0
	.set _Z17warp_store_kernelILj256ELj64ELj64ELN6hipcub18WarpStoreAlgorithmE2EiEvPT3_.uses_flat_scratch, 0
	.set _Z17warp_store_kernelILj256ELj64ELj64ELN6hipcub18WarpStoreAlgorithmE2EiEvPT3_.has_dyn_sized_stack, 0
	.set _Z17warp_store_kernelILj256ELj64ELj64ELN6hipcub18WarpStoreAlgorithmE2EiEvPT3_.has_recursion, 0
	.set _Z17warp_store_kernelILj256ELj64ELj64ELN6hipcub18WarpStoreAlgorithmE2EiEvPT3_.has_indirect_call, 0
	.section	.AMDGPU.csdata,"",@progbits
; Kernel info:
; codeLenInByte = 616
; TotalNumSgprs: 5
; NumVgprs: 26
; ScratchSize: 0
; MemoryBound: 1
; FloatMode: 240
; IeeeMode: 1
; LDSByteSize: 0 bytes/workgroup (compile time only)
; SGPRBlocks: 0
; VGPRBlocks: 1
; NumSGPRsForWavesPerEU: 5
; NumVGPRsForWavesPerEU: 26
; NamedBarCnt: 0
; Occupancy: 16
; WaveLimiterHint : 1
; COMPUTE_PGM_RSRC2:SCRATCH_EN: 0
; COMPUTE_PGM_RSRC2:USER_SGPR: 2
; COMPUTE_PGM_RSRC2:TRAP_HANDLER: 0
; COMPUTE_PGM_RSRC2:TGID_X_EN: 1
; COMPUTE_PGM_RSRC2:TGID_Y_EN: 0
; COMPUTE_PGM_RSRC2:TGID_Z_EN: 0
; COMPUTE_PGM_RSRC2:TIDIG_COMP_CNT: 0
	.section	.text._Z17warp_store_kernelILj256ELj4ELj64ELN6hipcub18WarpStoreAlgorithmE0EdEvPT3_,"axG",@progbits,_Z17warp_store_kernelILj256ELj4ELj64ELN6hipcub18WarpStoreAlgorithmE0EdEvPT3_,comdat
	.protected	_Z17warp_store_kernelILj256ELj4ELj64ELN6hipcub18WarpStoreAlgorithmE0EdEvPT3_ ; -- Begin function _Z17warp_store_kernelILj256ELj4ELj64ELN6hipcub18WarpStoreAlgorithmE0EdEvPT3_
	.globl	_Z17warp_store_kernelILj256ELj4ELj64ELN6hipcub18WarpStoreAlgorithmE0EdEvPT3_
	.p2align	8
	.type	_Z17warp_store_kernelILj256ELj4ELj64ELN6hipcub18WarpStoreAlgorithmE0EdEvPT3_,@function
_Z17warp_store_kernelILj256ELj4ELj64ELN6hipcub18WarpStoreAlgorithmE0EdEvPT3_: ; @_Z17warp_store_kernelILj256ELj4ELj64ELN6hipcub18WarpStoreAlgorithmE0EdEvPT3_
; %bb.0:
	s_load_b64 s[0:1], s[0:1], 0x0
	s_bfe_u32 s2, ttmp6, 0x4000c
	s_and_b32 s3, ttmp6, 15
	s_add_co_i32 s2, s2, 1
	s_getreg_b32 s4, hwreg(HW_REG_IB_STS2, 6, 4)
	s_mul_i32 s2, ttmp9, s2
	v_dual_mov_b32 v1, 0 :: v_dual_lshlrev_b32 v0, 2, v0
	s_add_co_i32 s3, s3, s2
	s_cmp_eq_u32 s4, 0
	v_mbcnt_lo_u32_b32 v2, -1, 0
	s_cselect_b32 s2, ttmp9, s3
	v_mov_b32_e32 v5, 2.0
	s_lshl_b32 s2, s2, 10
	v_dual_mov_b32 v7, 0x40080000 :: v_dual_mov_b32 v4, v1
	v_and_or_b32 v0, 0x300, v0, s2
	v_dual_mov_b32 v3, 0x3ff00000 :: v_dual_mov_b32 v6, v1
	s_wait_kmcnt 0x0
	s_delay_alu instid0(VALU_DEP_2) | instskip(SKIP_1) | instid1(VALU_DEP_1)
	v_lshl_add_u64 v[8:9], v[0:1], 3, s[0:1]
	v_dual_lshlrev_b32 v0, 5, v2 :: v_dual_mov_b32 v2, v1
	v_add_nc_u64_e32 v[8:9], v[8:9], v[0:1]
	v_mov_b32_e32 v0, v1
	s_clause 0x1
	global_store_b128 v[8:9], v[0:3], off
	global_store_b128 v[8:9], v[4:7], off offset:16
	s_endpgm
	.section	.rodata,"a",@progbits
	.p2align	6, 0x0
	.amdhsa_kernel _Z17warp_store_kernelILj256ELj4ELj64ELN6hipcub18WarpStoreAlgorithmE0EdEvPT3_
		.amdhsa_group_segment_fixed_size 0
		.amdhsa_private_segment_fixed_size 0
		.amdhsa_kernarg_size 8
		.amdhsa_user_sgpr_count 2
		.amdhsa_user_sgpr_dispatch_ptr 0
		.amdhsa_user_sgpr_queue_ptr 0
		.amdhsa_user_sgpr_kernarg_segment_ptr 1
		.amdhsa_user_sgpr_dispatch_id 0
		.amdhsa_user_sgpr_kernarg_preload_length 0
		.amdhsa_user_sgpr_kernarg_preload_offset 0
		.amdhsa_user_sgpr_private_segment_size 0
		.amdhsa_wavefront_size32 1
		.amdhsa_uses_dynamic_stack 0
		.amdhsa_enable_private_segment 0
		.amdhsa_system_sgpr_workgroup_id_x 1
		.amdhsa_system_sgpr_workgroup_id_y 0
		.amdhsa_system_sgpr_workgroup_id_z 0
		.amdhsa_system_sgpr_workgroup_info 0
		.amdhsa_system_vgpr_workitem_id 0
		.amdhsa_next_free_vgpr 10
		.amdhsa_next_free_sgpr 5
		.amdhsa_named_barrier_count 0
		.amdhsa_reserve_vcc 0
		.amdhsa_float_round_mode_32 0
		.amdhsa_float_round_mode_16_64 0
		.amdhsa_float_denorm_mode_32 3
		.amdhsa_float_denorm_mode_16_64 3
		.amdhsa_fp16_overflow 0
		.amdhsa_memory_ordered 1
		.amdhsa_forward_progress 1
		.amdhsa_inst_pref_size 2
		.amdhsa_round_robin_scheduling 0
		.amdhsa_exception_fp_ieee_invalid_op 0
		.amdhsa_exception_fp_denorm_src 0
		.amdhsa_exception_fp_ieee_div_zero 0
		.amdhsa_exception_fp_ieee_overflow 0
		.amdhsa_exception_fp_ieee_underflow 0
		.amdhsa_exception_fp_ieee_inexact 0
		.amdhsa_exception_int_div_zero 0
	.end_amdhsa_kernel
	.section	.text._Z17warp_store_kernelILj256ELj4ELj64ELN6hipcub18WarpStoreAlgorithmE0EdEvPT3_,"axG",@progbits,_Z17warp_store_kernelILj256ELj4ELj64ELN6hipcub18WarpStoreAlgorithmE0EdEvPT3_,comdat
.Lfunc_end56:
	.size	_Z17warp_store_kernelILj256ELj4ELj64ELN6hipcub18WarpStoreAlgorithmE0EdEvPT3_, .Lfunc_end56-_Z17warp_store_kernelILj256ELj4ELj64ELN6hipcub18WarpStoreAlgorithmE0EdEvPT3_
                                        ; -- End function
	.set _Z17warp_store_kernelILj256ELj4ELj64ELN6hipcub18WarpStoreAlgorithmE0EdEvPT3_.num_vgpr, 10
	.set _Z17warp_store_kernelILj256ELj4ELj64ELN6hipcub18WarpStoreAlgorithmE0EdEvPT3_.num_agpr, 0
	.set _Z17warp_store_kernelILj256ELj4ELj64ELN6hipcub18WarpStoreAlgorithmE0EdEvPT3_.numbered_sgpr, 5
	.set _Z17warp_store_kernelILj256ELj4ELj64ELN6hipcub18WarpStoreAlgorithmE0EdEvPT3_.num_named_barrier, 0
	.set _Z17warp_store_kernelILj256ELj4ELj64ELN6hipcub18WarpStoreAlgorithmE0EdEvPT3_.private_seg_size, 0
	.set _Z17warp_store_kernelILj256ELj4ELj64ELN6hipcub18WarpStoreAlgorithmE0EdEvPT3_.uses_vcc, 0
	.set _Z17warp_store_kernelILj256ELj4ELj64ELN6hipcub18WarpStoreAlgorithmE0EdEvPT3_.uses_flat_scratch, 0
	.set _Z17warp_store_kernelILj256ELj4ELj64ELN6hipcub18WarpStoreAlgorithmE0EdEvPT3_.has_dyn_sized_stack, 0
	.set _Z17warp_store_kernelILj256ELj4ELj64ELN6hipcub18WarpStoreAlgorithmE0EdEvPT3_.has_recursion, 0
	.set _Z17warp_store_kernelILj256ELj4ELj64ELN6hipcub18WarpStoreAlgorithmE0EdEvPT3_.has_indirect_call, 0
	.section	.AMDGPU.csdata,"",@progbits
; Kernel info:
; codeLenInByte = 172
; TotalNumSgprs: 5
; NumVgprs: 10
; ScratchSize: 0
; MemoryBound: 0
; FloatMode: 240
; IeeeMode: 1
; LDSByteSize: 0 bytes/workgroup (compile time only)
; SGPRBlocks: 0
; VGPRBlocks: 0
; NumSGPRsForWavesPerEU: 5
; NumVGPRsForWavesPerEU: 10
; NamedBarCnt: 0
; Occupancy: 16
; WaveLimiterHint : 0
; COMPUTE_PGM_RSRC2:SCRATCH_EN: 0
; COMPUTE_PGM_RSRC2:USER_SGPR: 2
; COMPUTE_PGM_RSRC2:TRAP_HANDLER: 0
; COMPUTE_PGM_RSRC2:TGID_X_EN: 1
; COMPUTE_PGM_RSRC2:TGID_Y_EN: 0
; COMPUTE_PGM_RSRC2:TGID_Z_EN: 0
; COMPUTE_PGM_RSRC2:TIDIG_COMP_CNT: 0
	.section	.text._Z17warp_store_kernelILj256ELj4ELj64ELN6hipcub18WarpStoreAlgorithmE1EdEvPT3_,"axG",@progbits,_Z17warp_store_kernelILj256ELj4ELj64ELN6hipcub18WarpStoreAlgorithmE1EdEvPT3_,comdat
	.protected	_Z17warp_store_kernelILj256ELj4ELj64ELN6hipcub18WarpStoreAlgorithmE1EdEvPT3_ ; -- Begin function _Z17warp_store_kernelILj256ELj4ELj64ELN6hipcub18WarpStoreAlgorithmE1EdEvPT3_
	.globl	_Z17warp_store_kernelILj256ELj4ELj64ELN6hipcub18WarpStoreAlgorithmE1EdEvPT3_
	.p2align	8
	.type	_Z17warp_store_kernelILj256ELj4ELj64ELN6hipcub18WarpStoreAlgorithmE1EdEvPT3_,@function
_Z17warp_store_kernelILj256ELj4ELj64ELN6hipcub18WarpStoreAlgorithmE1EdEvPT3_: ; @_Z17warp_store_kernelILj256ELj4ELj64ELN6hipcub18WarpStoreAlgorithmE1EdEvPT3_
; %bb.0:
	s_load_b64 s[0:1], s[0:1], 0x0
	s_bfe_u32 s2, ttmp6, 0x4000c
	s_and_b32 s3, ttmp6, 15
	s_add_co_i32 s2, s2, 1
	s_getreg_b32 s4, hwreg(HW_REG_IB_STS2, 6, 4)
	s_mul_i32 s2, ttmp9, s2
	v_dual_mov_b32 v1, 0 :: v_dual_lshlrev_b32 v0, 2, v0
	s_add_co_i32 s3, s3, s2
	s_cmp_eq_u32 s4, 0
	v_mbcnt_lo_u32_b32 v4, -1, 0
	s_cselect_b32 s2, ttmp9, s3
	v_mov_b64_e32 v[6:7], 2.0
	s_lshl_b32 s2, s2, 10
	v_mov_b64_e32 v[8:9], 0x4008000000000000
	v_and_or_b32 v0, 0x300, v0, s2
	s_wait_kmcnt 0x0
	s_delay_alu instid0(VALU_DEP_1) | instskip(SKIP_2) | instid1(VALU_DEP_2)
	v_lshl_add_u64 v[2:3], v[0:1], 3, s[0:1]
	v_lshlrev_b32_e32 v0, 3, v4
	v_mov_b64_e32 v[4:5], 0
	v_add_nc_u64_e32 v[0:1], v[2:3], v[0:1]
	v_mov_b64_e32 v[2:3], 1.0
	s_clause 0x3
	global_store_b64 v[0:1], v[4:5], off
	global_store_b64 v[0:1], v[2:3], off offset:512
	global_store_b64 v[0:1], v[6:7], off offset:1024
	;; [unrolled: 1-line block ×3, first 2 shown]
	s_endpgm
	.section	.rodata,"a",@progbits
	.p2align	6, 0x0
	.amdhsa_kernel _Z17warp_store_kernelILj256ELj4ELj64ELN6hipcub18WarpStoreAlgorithmE1EdEvPT3_
		.amdhsa_group_segment_fixed_size 0
		.amdhsa_private_segment_fixed_size 0
		.amdhsa_kernarg_size 8
		.amdhsa_user_sgpr_count 2
		.amdhsa_user_sgpr_dispatch_ptr 0
		.amdhsa_user_sgpr_queue_ptr 0
		.amdhsa_user_sgpr_kernarg_segment_ptr 1
		.amdhsa_user_sgpr_dispatch_id 0
		.amdhsa_user_sgpr_kernarg_preload_length 0
		.amdhsa_user_sgpr_kernarg_preload_offset 0
		.amdhsa_user_sgpr_private_segment_size 0
		.amdhsa_wavefront_size32 1
		.amdhsa_uses_dynamic_stack 0
		.amdhsa_enable_private_segment 0
		.amdhsa_system_sgpr_workgroup_id_x 1
		.amdhsa_system_sgpr_workgroup_id_y 0
		.amdhsa_system_sgpr_workgroup_id_z 0
		.amdhsa_system_sgpr_workgroup_info 0
		.amdhsa_system_vgpr_workitem_id 0
		.amdhsa_next_free_vgpr 10
		.amdhsa_next_free_sgpr 5
		.amdhsa_named_barrier_count 0
		.amdhsa_reserve_vcc 0
		.amdhsa_float_round_mode_32 0
		.amdhsa_float_round_mode_16_64 0
		.amdhsa_float_denorm_mode_32 3
		.amdhsa_float_denorm_mode_16_64 3
		.amdhsa_fp16_overflow 0
		.amdhsa_memory_ordered 1
		.amdhsa_forward_progress 1
		.amdhsa_inst_pref_size 2
		.amdhsa_round_robin_scheduling 0
		.amdhsa_exception_fp_ieee_invalid_op 0
		.amdhsa_exception_fp_denorm_src 0
		.amdhsa_exception_fp_ieee_div_zero 0
		.amdhsa_exception_fp_ieee_overflow 0
		.amdhsa_exception_fp_ieee_underflow 0
		.amdhsa_exception_fp_ieee_inexact 0
		.amdhsa_exception_int_div_zero 0
	.end_amdhsa_kernel
	.section	.text._Z17warp_store_kernelILj256ELj4ELj64ELN6hipcub18WarpStoreAlgorithmE1EdEvPT3_,"axG",@progbits,_Z17warp_store_kernelILj256ELj4ELj64ELN6hipcub18WarpStoreAlgorithmE1EdEvPT3_,comdat
.Lfunc_end57:
	.size	_Z17warp_store_kernelILj256ELj4ELj64ELN6hipcub18WarpStoreAlgorithmE1EdEvPT3_, .Lfunc_end57-_Z17warp_store_kernelILj256ELj4ELj64ELN6hipcub18WarpStoreAlgorithmE1EdEvPT3_
                                        ; -- End function
	.set _Z17warp_store_kernelILj256ELj4ELj64ELN6hipcub18WarpStoreAlgorithmE1EdEvPT3_.num_vgpr, 10
	.set _Z17warp_store_kernelILj256ELj4ELj64ELN6hipcub18WarpStoreAlgorithmE1EdEvPT3_.num_agpr, 0
	.set _Z17warp_store_kernelILj256ELj4ELj64ELN6hipcub18WarpStoreAlgorithmE1EdEvPT3_.numbered_sgpr, 5
	.set _Z17warp_store_kernelILj256ELj4ELj64ELN6hipcub18WarpStoreAlgorithmE1EdEvPT3_.num_named_barrier, 0
	.set _Z17warp_store_kernelILj256ELj4ELj64ELN6hipcub18WarpStoreAlgorithmE1EdEvPT3_.private_seg_size, 0
	.set _Z17warp_store_kernelILj256ELj4ELj64ELN6hipcub18WarpStoreAlgorithmE1EdEvPT3_.uses_vcc, 0
	.set _Z17warp_store_kernelILj256ELj4ELj64ELN6hipcub18WarpStoreAlgorithmE1EdEvPT3_.uses_flat_scratch, 0
	.set _Z17warp_store_kernelILj256ELj4ELj64ELN6hipcub18WarpStoreAlgorithmE1EdEvPT3_.has_dyn_sized_stack, 0
	.set _Z17warp_store_kernelILj256ELj4ELj64ELN6hipcub18WarpStoreAlgorithmE1EdEvPT3_.has_recursion, 0
	.set _Z17warp_store_kernelILj256ELj4ELj64ELN6hipcub18WarpStoreAlgorithmE1EdEvPT3_.has_indirect_call, 0
	.section	.AMDGPU.csdata,"",@progbits
; Kernel info:
; codeLenInByte = 180
; TotalNumSgprs: 5
; NumVgprs: 10
; ScratchSize: 0
; MemoryBound: 0
; FloatMode: 240
; IeeeMode: 1
; LDSByteSize: 0 bytes/workgroup (compile time only)
; SGPRBlocks: 0
; VGPRBlocks: 0
; NumSGPRsForWavesPerEU: 5
; NumVGPRsForWavesPerEU: 10
; NamedBarCnt: 0
; Occupancy: 16
; WaveLimiterHint : 1
; COMPUTE_PGM_RSRC2:SCRATCH_EN: 0
; COMPUTE_PGM_RSRC2:USER_SGPR: 2
; COMPUTE_PGM_RSRC2:TRAP_HANDLER: 0
; COMPUTE_PGM_RSRC2:TGID_X_EN: 1
; COMPUTE_PGM_RSRC2:TGID_Y_EN: 0
; COMPUTE_PGM_RSRC2:TGID_Z_EN: 0
; COMPUTE_PGM_RSRC2:TIDIG_COMP_CNT: 0
	.section	.text._Z17warp_store_kernelILj256ELj4ELj64ELN6hipcub18WarpStoreAlgorithmE2EdEvPT3_,"axG",@progbits,_Z17warp_store_kernelILj256ELj4ELj64ELN6hipcub18WarpStoreAlgorithmE2EdEvPT3_,comdat
	.protected	_Z17warp_store_kernelILj256ELj4ELj64ELN6hipcub18WarpStoreAlgorithmE2EdEvPT3_ ; -- Begin function _Z17warp_store_kernelILj256ELj4ELj64ELN6hipcub18WarpStoreAlgorithmE2EdEvPT3_
	.globl	_Z17warp_store_kernelILj256ELj4ELj64ELN6hipcub18WarpStoreAlgorithmE2EdEvPT3_
	.p2align	8
	.type	_Z17warp_store_kernelILj256ELj4ELj64ELN6hipcub18WarpStoreAlgorithmE2EdEvPT3_,@function
_Z17warp_store_kernelILj256ELj4ELj64ELN6hipcub18WarpStoreAlgorithmE2EdEvPT3_: ; @_Z17warp_store_kernelILj256ELj4ELj64ELN6hipcub18WarpStoreAlgorithmE2EdEvPT3_
; %bb.0:
	s_load_b64 s[0:1], s[0:1], 0x0
	s_bfe_u32 s2, ttmp6, 0x4000c
	s_and_b32 s3, ttmp6, 15
	s_add_co_i32 s2, s2, 1
	s_getreg_b32 s4, hwreg(HW_REG_IB_STS2, 6, 4)
	s_mul_i32 s2, ttmp9, s2
	v_dual_mov_b32 v1, 0 :: v_dual_lshlrev_b32 v0, 2, v0
	s_add_co_i32 s3, s3, s2
	s_cmp_eq_u32 s4, 0
	v_mbcnt_lo_u32_b32 v2, -1, 0
	s_cselect_b32 s2, ttmp9, s3
	v_mov_b32_e32 v5, 2.0
	s_lshl_b32 s2, s2, 10
	v_dual_mov_b32 v7, 0x40080000 :: v_dual_mov_b32 v4, v1
	v_and_or_b32 v0, 0x300, v0, s2
	v_dual_mov_b32 v3, 0x3ff00000 :: v_dual_mov_b32 v6, v1
	s_wait_kmcnt 0x0
	s_delay_alu instid0(VALU_DEP_2) | instskip(SKIP_1) | instid1(VALU_DEP_1)
	v_lshl_add_u64 v[8:9], v[0:1], 3, s[0:1]
	v_dual_lshlrev_b32 v0, 5, v2 :: v_dual_mov_b32 v2, v1
	v_add_nc_u64_e32 v[8:9], v[8:9], v[0:1]
	v_mov_b32_e32 v0, v1
	s_clause 0x1
	global_store_b128 v[8:9], v[0:3], off
	global_store_b128 v[8:9], v[4:7], off offset:16
	s_endpgm
	.section	.rodata,"a",@progbits
	.p2align	6, 0x0
	.amdhsa_kernel _Z17warp_store_kernelILj256ELj4ELj64ELN6hipcub18WarpStoreAlgorithmE2EdEvPT3_
		.amdhsa_group_segment_fixed_size 0
		.amdhsa_private_segment_fixed_size 0
		.amdhsa_kernarg_size 8
		.amdhsa_user_sgpr_count 2
		.amdhsa_user_sgpr_dispatch_ptr 0
		.amdhsa_user_sgpr_queue_ptr 0
		.amdhsa_user_sgpr_kernarg_segment_ptr 1
		.amdhsa_user_sgpr_dispatch_id 0
		.amdhsa_user_sgpr_kernarg_preload_length 0
		.amdhsa_user_sgpr_kernarg_preload_offset 0
		.amdhsa_user_sgpr_private_segment_size 0
		.amdhsa_wavefront_size32 1
		.amdhsa_uses_dynamic_stack 0
		.amdhsa_enable_private_segment 0
		.amdhsa_system_sgpr_workgroup_id_x 1
		.amdhsa_system_sgpr_workgroup_id_y 0
		.amdhsa_system_sgpr_workgroup_id_z 0
		.amdhsa_system_sgpr_workgroup_info 0
		.amdhsa_system_vgpr_workitem_id 0
		.amdhsa_next_free_vgpr 10
		.amdhsa_next_free_sgpr 5
		.amdhsa_named_barrier_count 0
		.amdhsa_reserve_vcc 0
		.amdhsa_float_round_mode_32 0
		.amdhsa_float_round_mode_16_64 0
		.amdhsa_float_denorm_mode_32 3
		.amdhsa_float_denorm_mode_16_64 3
		.amdhsa_fp16_overflow 0
		.amdhsa_memory_ordered 1
		.amdhsa_forward_progress 1
		.amdhsa_inst_pref_size 2
		.amdhsa_round_robin_scheduling 0
		.amdhsa_exception_fp_ieee_invalid_op 0
		.amdhsa_exception_fp_denorm_src 0
		.amdhsa_exception_fp_ieee_div_zero 0
		.amdhsa_exception_fp_ieee_overflow 0
		.amdhsa_exception_fp_ieee_underflow 0
		.amdhsa_exception_fp_ieee_inexact 0
		.amdhsa_exception_int_div_zero 0
	.end_amdhsa_kernel
	.section	.text._Z17warp_store_kernelILj256ELj4ELj64ELN6hipcub18WarpStoreAlgorithmE2EdEvPT3_,"axG",@progbits,_Z17warp_store_kernelILj256ELj4ELj64ELN6hipcub18WarpStoreAlgorithmE2EdEvPT3_,comdat
.Lfunc_end58:
	.size	_Z17warp_store_kernelILj256ELj4ELj64ELN6hipcub18WarpStoreAlgorithmE2EdEvPT3_, .Lfunc_end58-_Z17warp_store_kernelILj256ELj4ELj64ELN6hipcub18WarpStoreAlgorithmE2EdEvPT3_
                                        ; -- End function
	.set _Z17warp_store_kernelILj256ELj4ELj64ELN6hipcub18WarpStoreAlgorithmE2EdEvPT3_.num_vgpr, 10
	.set _Z17warp_store_kernelILj256ELj4ELj64ELN6hipcub18WarpStoreAlgorithmE2EdEvPT3_.num_agpr, 0
	.set _Z17warp_store_kernelILj256ELj4ELj64ELN6hipcub18WarpStoreAlgorithmE2EdEvPT3_.numbered_sgpr, 5
	.set _Z17warp_store_kernelILj256ELj4ELj64ELN6hipcub18WarpStoreAlgorithmE2EdEvPT3_.num_named_barrier, 0
	.set _Z17warp_store_kernelILj256ELj4ELj64ELN6hipcub18WarpStoreAlgorithmE2EdEvPT3_.private_seg_size, 0
	.set _Z17warp_store_kernelILj256ELj4ELj64ELN6hipcub18WarpStoreAlgorithmE2EdEvPT3_.uses_vcc, 0
	.set _Z17warp_store_kernelILj256ELj4ELj64ELN6hipcub18WarpStoreAlgorithmE2EdEvPT3_.uses_flat_scratch, 0
	.set _Z17warp_store_kernelILj256ELj4ELj64ELN6hipcub18WarpStoreAlgorithmE2EdEvPT3_.has_dyn_sized_stack, 0
	.set _Z17warp_store_kernelILj256ELj4ELj64ELN6hipcub18WarpStoreAlgorithmE2EdEvPT3_.has_recursion, 0
	.set _Z17warp_store_kernelILj256ELj4ELj64ELN6hipcub18WarpStoreAlgorithmE2EdEvPT3_.has_indirect_call, 0
	.section	.AMDGPU.csdata,"",@progbits
; Kernel info:
; codeLenInByte = 172
; TotalNumSgprs: 5
; NumVgprs: 10
; ScratchSize: 0
; MemoryBound: 0
; FloatMode: 240
; IeeeMode: 1
; LDSByteSize: 0 bytes/workgroup (compile time only)
; SGPRBlocks: 0
; VGPRBlocks: 0
; NumSGPRsForWavesPerEU: 5
; NumVGPRsForWavesPerEU: 10
; NamedBarCnt: 0
; Occupancy: 16
; WaveLimiterHint : 0
; COMPUTE_PGM_RSRC2:SCRATCH_EN: 0
; COMPUTE_PGM_RSRC2:USER_SGPR: 2
; COMPUTE_PGM_RSRC2:TRAP_HANDLER: 0
; COMPUTE_PGM_RSRC2:TGID_X_EN: 1
; COMPUTE_PGM_RSRC2:TGID_Y_EN: 0
; COMPUTE_PGM_RSRC2:TGID_Z_EN: 0
; COMPUTE_PGM_RSRC2:TIDIG_COMP_CNT: 0
	.section	.text._Z17warp_store_kernelILj256ELj4ELj64ELN6hipcub18WarpStoreAlgorithmE3EdEvPT3_,"axG",@progbits,_Z17warp_store_kernelILj256ELj4ELj64ELN6hipcub18WarpStoreAlgorithmE3EdEvPT3_,comdat
	.protected	_Z17warp_store_kernelILj256ELj4ELj64ELN6hipcub18WarpStoreAlgorithmE3EdEvPT3_ ; -- Begin function _Z17warp_store_kernelILj256ELj4ELj64ELN6hipcub18WarpStoreAlgorithmE3EdEvPT3_
	.globl	_Z17warp_store_kernelILj256ELj4ELj64ELN6hipcub18WarpStoreAlgorithmE3EdEvPT3_
	.p2align	8
	.type	_Z17warp_store_kernelILj256ELj4ELj64ELN6hipcub18WarpStoreAlgorithmE3EdEvPT3_,@function
_Z17warp_store_kernelILj256ELj4ELj64ELN6hipcub18WarpStoreAlgorithmE3EdEvPT3_: ; @_Z17warp_store_kernelILj256ELj4ELj64ELN6hipcub18WarpStoreAlgorithmE3EdEvPT3_
; %bb.0:
	s_load_b64 s[0:1], s[0:1], 0x0
	s_bfe_u32 s2, ttmp6, 0x4000c
	s_and_b32 s3, ttmp6, 15
	s_add_co_i32 s2, s2, 1
	s_getreg_b32 s4, hwreg(HW_REG_IB_STS2, 6, 4)
	s_mul_i32 s2, ttmp9, s2
	v_dual_mov_b32 v1, 0 :: v_dual_lshrrev_b32 v0, 6, v0
	s_add_co_i32 s3, s3, s2
	s_cmp_eq_u32 s4, 0
	v_mbcnt_lo_u32_b32 v8, -1, 0
	s_cselect_b32 s2, ttmp9, s3
	v_dual_mov_b32 v2, v1 :: v_dual_lshlrev_b32 v9, 11, v0
	s_lshl_b32 s2, s2, 10
	v_mov_b32_e32 v3, 0x3ff00000
	v_lshl_or_b32 v0, v0, 8, s2
	s_delay_alu instid0(VALU_DEP_3)
	v_lshl_or_b32 v12, v8, 5, v9
	v_dual_mov_b32 v5, 2.0 :: v_dual_mov_b32 v4, v1
	v_dual_mov_b32 v7, 0x40080000 :: v_dual_mov_b32 v6, v1
	s_wait_kmcnt 0x0
	v_lshl_add_u64 v[10:11], v[0:1], 3, s[0:1]
	v_mov_b32_e32 v0, v1
	ds_store_b128 v12, v[4:7] offset:16
	ds_store_b128 v12, v[0:3]
	v_lshlrev_b32_e32 v0, 3, v8
	; wave barrier
	s_delay_alu instid0(VALU_DEP_1)
	v_or_b32_e32 v8, v9, v0
	ds_load_2addr_stride64_b64 v[2:5], v8 offset1:1
	ds_load_2addr_stride64_b64 v[6:9], v8 offset0:2 offset1:3
	v_add_nc_u64_e32 v[0:1], v[10:11], v[0:1]
	s_wait_dscnt 0x1
	s_clause 0x1
	global_store_b64 v[0:1], v[2:3], off
	global_store_b64 v[0:1], v[4:5], off offset:512
	s_wait_dscnt 0x0
	s_clause 0x1
	global_store_b64 v[0:1], v[6:7], off offset:1024
	global_store_b64 v[0:1], v[8:9], off offset:1536
	s_endpgm
	.section	.rodata,"a",@progbits
	.p2align	6, 0x0
	.amdhsa_kernel _Z17warp_store_kernelILj256ELj4ELj64ELN6hipcub18WarpStoreAlgorithmE3EdEvPT3_
		.amdhsa_group_segment_fixed_size 8192
		.amdhsa_private_segment_fixed_size 0
		.amdhsa_kernarg_size 8
		.amdhsa_user_sgpr_count 2
		.amdhsa_user_sgpr_dispatch_ptr 0
		.amdhsa_user_sgpr_queue_ptr 0
		.amdhsa_user_sgpr_kernarg_segment_ptr 1
		.amdhsa_user_sgpr_dispatch_id 0
		.amdhsa_user_sgpr_kernarg_preload_length 0
		.amdhsa_user_sgpr_kernarg_preload_offset 0
		.amdhsa_user_sgpr_private_segment_size 0
		.amdhsa_wavefront_size32 1
		.amdhsa_uses_dynamic_stack 0
		.amdhsa_enable_private_segment 0
		.amdhsa_system_sgpr_workgroup_id_x 1
		.amdhsa_system_sgpr_workgroup_id_y 0
		.amdhsa_system_sgpr_workgroup_id_z 0
		.amdhsa_system_sgpr_workgroup_info 0
		.amdhsa_system_vgpr_workitem_id 0
		.amdhsa_next_free_vgpr 13
		.amdhsa_next_free_sgpr 5
		.amdhsa_named_barrier_count 0
		.amdhsa_reserve_vcc 0
		.amdhsa_float_round_mode_32 0
		.amdhsa_float_round_mode_16_64 0
		.amdhsa_float_denorm_mode_32 3
		.amdhsa_float_denorm_mode_16_64 3
		.amdhsa_fp16_overflow 0
		.amdhsa_memory_ordered 1
		.amdhsa_forward_progress 1
		.amdhsa_inst_pref_size 2
		.amdhsa_round_robin_scheduling 0
		.amdhsa_exception_fp_ieee_invalid_op 0
		.amdhsa_exception_fp_denorm_src 0
		.amdhsa_exception_fp_ieee_div_zero 0
		.amdhsa_exception_fp_ieee_overflow 0
		.amdhsa_exception_fp_ieee_underflow 0
		.amdhsa_exception_fp_ieee_inexact 0
		.amdhsa_exception_int_div_zero 0
	.end_amdhsa_kernel
	.section	.text._Z17warp_store_kernelILj256ELj4ELj64ELN6hipcub18WarpStoreAlgorithmE3EdEvPT3_,"axG",@progbits,_Z17warp_store_kernelILj256ELj4ELj64ELN6hipcub18WarpStoreAlgorithmE3EdEvPT3_,comdat
.Lfunc_end59:
	.size	_Z17warp_store_kernelILj256ELj4ELj64ELN6hipcub18WarpStoreAlgorithmE3EdEvPT3_, .Lfunc_end59-_Z17warp_store_kernelILj256ELj4ELj64ELN6hipcub18WarpStoreAlgorithmE3EdEvPT3_
                                        ; -- End function
	.set _Z17warp_store_kernelILj256ELj4ELj64ELN6hipcub18WarpStoreAlgorithmE3EdEvPT3_.num_vgpr, 13
	.set _Z17warp_store_kernelILj256ELj4ELj64ELN6hipcub18WarpStoreAlgorithmE3EdEvPT3_.num_agpr, 0
	.set _Z17warp_store_kernelILj256ELj4ELj64ELN6hipcub18WarpStoreAlgorithmE3EdEvPT3_.numbered_sgpr, 5
	.set _Z17warp_store_kernelILj256ELj4ELj64ELN6hipcub18WarpStoreAlgorithmE3EdEvPT3_.num_named_barrier, 0
	.set _Z17warp_store_kernelILj256ELj4ELj64ELN6hipcub18WarpStoreAlgorithmE3EdEvPT3_.private_seg_size, 0
	.set _Z17warp_store_kernelILj256ELj4ELj64ELN6hipcub18WarpStoreAlgorithmE3EdEvPT3_.uses_vcc, 0
	.set _Z17warp_store_kernelILj256ELj4ELj64ELN6hipcub18WarpStoreAlgorithmE3EdEvPT3_.uses_flat_scratch, 0
	.set _Z17warp_store_kernelILj256ELj4ELj64ELN6hipcub18WarpStoreAlgorithmE3EdEvPT3_.has_dyn_sized_stack, 0
	.set _Z17warp_store_kernelILj256ELj4ELj64ELN6hipcub18WarpStoreAlgorithmE3EdEvPT3_.has_recursion, 0
	.set _Z17warp_store_kernelILj256ELj4ELj64ELN6hipcub18WarpStoreAlgorithmE3EdEvPT3_.has_indirect_call, 0
	.section	.AMDGPU.csdata,"",@progbits
; Kernel info:
; codeLenInByte = 252
; TotalNumSgprs: 5
; NumVgprs: 13
; ScratchSize: 0
; MemoryBound: 1
; FloatMode: 240
; IeeeMode: 1
; LDSByteSize: 8192 bytes/workgroup (compile time only)
; SGPRBlocks: 0
; VGPRBlocks: 0
; NumSGPRsForWavesPerEU: 5
; NumVGPRsForWavesPerEU: 13
; NamedBarCnt: 0
; Occupancy: 16
; WaveLimiterHint : 1
; COMPUTE_PGM_RSRC2:SCRATCH_EN: 0
; COMPUTE_PGM_RSRC2:USER_SGPR: 2
; COMPUTE_PGM_RSRC2:TRAP_HANDLER: 0
; COMPUTE_PGM_RSRC2:TGID_X_EN: 1
; COMPUTE_PGM_RSRC2:TGID_Y_EN: 0
; COMPUTE_PGM_RSRC2:TGID_Z_EN: 0
; COMPUTE_PGM_RSRC2:TIDIG_COMP_CNT: 0
	.section	.text._Z17warp_store_kernelILj256ELj8ELj64ELN6hipcub18WarpStoreAlgorithmE0EdEvPT3_,"axG",@progbits,_Z17warp_store_kernelILj256ELj8ELj64ELN6hipcub18WarpStoreAlgorithmE0EdEvPT3_,comdat
	.protected	_Z17warp_store_kernelILj256ELj8ELj64ELN6hipcub18WarpStoreAlgorithmE0EdEvPT3_ ; -- Begin function _Z17warp_store_kernelILj256ELj8ELj64ELN6hipcub18WarpStoreAlgorithmE0EdEvPT3_
	.globl	_Z17warp_store_kernelILj256ELj8ELj64ELN6hipcub18WarpStoreAlgorithmE0EdEvPT3_
	.p2align	8
	.type	_Z17warp_store_kernelILj256ELj8ELj64ELN6hipcub18WarpStoreAlgorithmE0EdEvPT3_,@function
_Z17warp_store_kernelILj256ELj8ELj64ELN6hipcub18WarpStoreAlgorithmE0EdEvPT3_: ; @_Z17warp_store_kernelILj256ELj8ELj64ELN6hipcub18WarpStoreAlgorithmE0EdEvPT3_
; %bb.0:
	s_load_b64 s[0:1], s[0:1], 0x0
	s_bfe_u32 s2, ttmp6, 0x4000c
	s_and_b32 s3, ttmp6, 15
	s_add_co_i32 s2, s2, 1
	s_getreg_b32 s4, hwreg(HW_REG_IB_STS2, 6, 4)
	s_mul_i32 s2, ttmp9, s2
	v_dual_mov_b32 v1, 0 :: v_dual_lshlrev_b32 v0, 3, v0
	s_add_co_i32 s3, s3, s2
	s_cmp_eq_u32 s4, 0
	v_mbcnt_lo_u32_b32 v2, -1, 0
	s_cselect_b32 s2, ttmp9, s3
	v_mov_b32_e32 v3, 0x3ff00000
	s_lshl_b32 s2, s2, 11
	v_mov_b32_e32 v5, 2.0
	v_and_or_b32 v0, 0x600, v0, s2
	v_mov_b32_e32 v11, 0x40140000
	v_dual_mov_b32 v7, 0x40080000 :: v_dual_mov_b32 v4, v1
	v_dual_mov_b32 v9, 0x40100000 :: v_dual_mov_b32 v6, v1
	s_wait_kmcnt 0x0
	v_lshl_add_u64 v[12:13], v[0:1], 3, s[0:1]
	v_dual_lshlrev_b32 v0, 6, v2 :: v_dual_mov_b32 v2, v1
	v_dual_mov_b32 v8, v1 :: v_dual_mov_b32 v10, v1
	v_dual_mov_b32 v15, 0x401c0000 :: v_dual_mov_b32 v14, v1
	s_delay_alu instid0(VALU_DEP_3)
	v_add_nc_u64_e32 v[16:17], v[12:13], v[0:1]
	v_dual_mov_b32 v0, v1 :: v_dual_mov_b32 v13, 0x40180000
	v_mov_b32_e32 v12, v1
	s_clause 0x3
	global_store_b128 v[16:17], v[0:3], off
	global_store_b128 v[16:17], v[4:7], off offset:16
	global_store_b128 v[16:17], v[8:11], off offset:32
	;; [unrolled: 1-line block ×3, first 2 shown]
	s_endpgm
	.section	.rodata,"a",@progbits
	.p2align	6, 0x0
	.amdhsa_kernel _Z17warp_store_kernelILj256ELj8ELj64ELN6hipcub18WarpStoreAlgorithmE0EdEvPT3_
		.amdhsa_group_segment_fixed_size 0
		.amdhsa_private_segment_fixed_size 0
		.amdhsa_kernarg_size 8
		.amdhsa_user_sgpr_count 2
		.amdhsa_user_sgpr_dispatch_ptr 0
		.amdhsa_user_sgpr_queue_ptr 0
		.amdhsa_user_sgpr_kernarg_segment_ptr 1
		.amdhsa_user_sgpr_dispatch_id 0
		.amdhsa_user_sgpr_kernarg_preload_length 0
		.amdhsa_user_sgpr_kernarg_preload_offset 0
		.amdhsa_user_sgpr_private_segment_size 0
		.amdhsa_wavefront_size32 1
		.amdhsa_uses_dynamic_stack 0
		.amdhsa_enable_private_segment 0
		.amdhsa_system_sgpr_workgroup_id_x 1
		.amdhsa_system_sgpr_workgroup_id_y 0
		.amdhsa_system_sgpr_workgroup_id_z 0
		.amdhsa_system_sgpr_workgroup_info 0
		.amdhsa_system_vgpr_workitem_id 0
		.amdhsa_next_free_vgpr 18
		.amdhsa_next_free_sgpr 5
		.amdhsa_named_barrier_count 0
		.amdhsa_reserve_vcc 0
		.amdhsa_float_round_mode_32 0
		.amdhsa_float_round_mode_16_64 0
		.amdhsa_float_denorm_mode_32 3
		.amdhsa_float_denorm_mode_16_64 3
		.amdhsa_fp16_overflow 0
		.amdhsa_memory_ordered 1
		.amdhsa_forward_progress 1
		.amdhsa_inst_pref_size 2
		.amdhsa_round_robin_scheduling 0
		.amdhsa_exception_fp_ieee_invalid_op 0
		.amdhsa_exception_fp_denorm_src 0
		.amdhsa_exception_fp_ieee_div_zero 0
		.amdhsa_exception_fp_ieee_overflow 0
		.amdhsa_exception_fp_ieee_underflow 0
		.amdhsa_exception_fp_ieee_inexact 0
		.amdhsa_exception_int_div_zero 0
	.end_amdhsa_kernel
	.section	.text._Z17warp_store_kernelILj256ELj8ELj64ELN6hipcub18WarpStoreAlgorithmE0EdEvPT3_,"axG",@progbits,_Z17warp_store_kernelILj256ELj8ELj64ELN6hipcub18WarpStoreAlgorithmE0EdEvPT3_,comdat
.Lfunc_end60:
	.size	_Z17warp_store_kernelILj256ELj8ELj64ELN6hipcub18WarpStoreAlgorithmE0EdEvPT3_, .Lfunc_end60-_Z17warp_store_kernelILj256ELj8ELj64ELN6hipcub18WarpStoreAlgorithmE0EdEvPT3_
                                        ; -- End function
	.set _Z17warp_store_kernelILj256ELj8ELj64ELN6hipcub18WarpStoreAlgorithmE0EdEvPT3_.num_vgpr, 18
	.set _Z17warp_store_kernelILj256ELj8ELj64ELN6hipcub18WarpStoreAlgorithmE0EdEvPT3_.num_agpr, 0
	.set _Z17warp_store_kernelILj256ELj8ELj64ELN6hipcub18WarpStoreAlgorithmE0EdEvPT3_.numbered_sgpr, 5
	.set _Z17warp_store_kernelILj256ELj8ELj64ELN6hipcub18WarpStoreAlgorithmE0EdEvPT3_.num_named_barrier, 0
	.set _Z17warp_store_kernelILj256ELj8ELj64ELN6hipcub18WarpStoreAlgorithmE0EdEvPT3_.private_seg_size, 0
	.set _Z17warp_store_kernelILj256ELj8ELj64ELN6hipcub18WarpStoreAlgorithmE0EdEvPT3_.uses_vcc, 0
	.set _Z17warp_store_kernelILj256ELj8ELj64ELN6hipcub18WarpStoreAlgorithmE0EdEvPT3_.uses_flat_scratch, 0
	.set _Z17warp_store_kernelILj256ELj8ELj64ELN6hipcub18WarpStoreAlgorithmE0EdEvPT3_.has_dyn_sized_stack, 0
	.set _Z17warp_store_kernelILj256ELj8ELj64ELN6hipcub18WarpStoreAlgorithmE0EdEvPT3_.has_recursion, 0
	.set _Z17warp_store_kernelILj256ELj8ELj64ELN6hipcub18WarpStoreAlgorithmE0EdEvPT3_.has_indirect_call, 0
	.section	.AMDGPU.csdata,"",@progbits
; Kernel info:
; codeLenInByte = 248
; TotalNumSgprs: 5
; NumVgprs: 18
; ScratchSize: 0
; MemoryBound: 1
; FloatMode: 240
; IeeeMode: 1
; LDSByteSize: 0 bytes/workgroup (compile time only)
; SGPRBlocks: 0
; VGPRBlocks: 1
; NumSGPRsForWavesPerEU: 5
; NumVGPRsForWavesPerEU: 18
; NamedBarCnt: 0
; Occupancy: 16
; WaveLimiterHint : 1
; COMPUTE_PGM_RSRC2:SCRATCH_EN: 0
; COMPUTE_PGM_RSRC2:USER_SGPR: 2
; COMPUTE_PGM_RSRC2:TRAP_HANDLER: 0
; COMPUTE_PGM_RSRC2:TGID_X_EN: 1
; COMPUTE_PGM_RSRC2:TGID_Y_EN: 0
; COMPUTE_PGM_RSRC2:TGID_Z_EN: 0
; COMPUTE_PGM_RSRC2:TIDIG_COMP_CNT: 0
	.section	.text._Z17warp_store_kernelILj256ELj8ELj64ELN6hipcub18WarpStoreAlgorithmE1EdEvPT3_,"axG",@progbits,_Z17warp_store_kernelILj256ELj8ELj64ELN6hipcub18WarpStoreAlgorithmE1EdEvPT3_,comdat
	.protected	_Z17warp_store_kernelILj256ELj8ELj64ELN6hipcub18WarpStoreAlgorithmE1EdEvPT3_ ; -- Begin function _Z17warp_store_kernelILj256ELj8ELj64ELN6hipcub18WarpStoreAlgorithmE1EdEvPT3_
	.globl	_Z17warp_store_kernelILj256ELj8ELj64ELN6hipcub18WarpStoreAlgorithmE1EdEvPT3_
	.p2align	8
	.type	_Z17warp_store_kernelILj256ELj8ELj64ELN6hipcub18WarpStoreAlgorithmE1EdEvPT3_,@function
_Z17warp_store_kernelILj256ELj8ELj64ELN6hipcub18WarpStoreAlgorithmE1EdEvPT3_: ; @_Z17warp_store_kernelILj256ELj8ELj64ELN6hipcub18WarpStoreAlgorithmE1EdEvPT3_
; %bb.0:
	s_load_b64 s[0:1], s[0:1], 0x0
	s_bfe_u32 s2, ttmp6, 0x4000c
	s_and_b32 s3, ttmp6, 15
	s_add_co_i32 s2, s2, 1
	s_getreg_b32 s4, hwreg(HW_REG_IB_STS2, 6, 4)
	s_mul_i32 s2, ttmp9, s2
	v_dual_mov_b32 v1, 0 :: v_dual_lshlrev_b32 v0, 3, v0
	s_add_co_i32 s3, s3, s2
	s_cmp_eq_u32 s4, 0
	v_mbcnt_lo_u32_b32 v4, -1, 0
	s_cselect_b32 s2, ttmp9, s3
	v_mov_b64_e32 v[6:7], 1.0
	s_lshl_b32 s2, s2, 11
	v_mov_b64_e32 v[8:9], 0x4008000000000000
	v_and_or_b32 v0, 0x600, v0, s2
	v_mov_b64_e32 v[10:11], 4.0
	v_mov_b64_e32 v[12:13], 0x4014000000000000
	v_mov_b64_e32 v[14:15], 0x4018000000000000
	v_mov_b64_e32 v[16:17], 0x401c000000000000
	s_wait_kmcnt 0x0
	v_lshl_add_u64 v[2:3], v[0:1], 3, s[0:1]
	v_lshlrev_b32_e32 v0, 3, v4
	v_mov_b64_e32 v[4:5], 0
	s_delay_alu instid0(VALU_DEP_2)
	v_add_nc_u64_e32 v[0:1], v[2:3], v[0:1]
	v_mov_b64_e32 v[2:3], 2.0
	s_clause 0x7
	global_store_b64 v[0:1], v[4:5], off
	global_store_b64 v[0:1], v[6:7], off offset:512
	global_store_b64 v[0:1], v[2:3], off offset:1024
	;; [unrolled: 1-line block ×7, first 2 shown]
	s_endpgm
	.section	.rodata,"a",@progbits
	.p2align	6, 0x0
	.amdhsa_kernel _Z17warp_store_kernelILj256ELj8ELj64ELN6hipcub18WarpStoreAlgorithmE1EdEvPT3_
		.amdhsa_group_segment_fixed_size 0
		.amdhsa_private_segment_fixed_size 0
		.amdhsa_kernarg_size 8
		.amdhsa_user_sgpr_count 2
		.amdhsa_user_sgpr_dispatch_ptr 0
		.amdhsa_user_sgpr_queue_ptr 0
		.amdhsa_user_sgpr_kernarg_segment_ptr 1
		.amdhsa_user_sgpr_dispatch_id 0
		.amdhsa_user_sgpr_kernarg_preload_length 0
		.amdhsa_user_sgpr_kernarg_preload_offset 0
		.amdhsa_user_sgpr_private_segment_size 0
		.amdhsa_wavefront_size32 1
		.amdhsa_uses_dynamic_stack 0
		.amdhsa_enable_private_segment 0
		.amdhsa_system_sgpr_workgroup_id_x 1
		.amdhsa_system_sgpr_workgroup_id_y 0
		.amdhsa_system_sgpr_workgroup_id_z 0
		.amdhsa_system_sgpr_workgroup_info 0
		.amdhsa_system_vgpr_workitem_id 0
		.amdhsa_next_free_vgpr 18
		.amdhsa_next_free_sgpr 5
		.amdhsa_named_barrier_count 0
		.amdhsa_reserve_vcc 0
		.amdhsa_float_round_mode_32 0
		.amdhsa_float_round_mode_16_64 0
		.amdhsa_float_denorm_mode_32 3
		.amdhsa_float_denorm_mode_16_64 3
		.amdhsa_fp16_overflow 0
		.amdhsa_memory_ordered 1
		.amdhsa_forward_progress 1
		.amdhsa_inst_pref_size 3
		.amdhsa_round_robin_scheduling 0
		.amdhsa_exception_fp_ieee_invalid_op 0
		.amdhsa_exception_fp_denorm_src 0
		.amdhsa_exception_fp_ieee_div_zero 0
		.amdhsa_exception_fp_ieee_overflow 0
		.amdhsa_exception_fp_ieee_underflow 0
		.amdhsa_exception_fp_ieee_inexact 0
		.amdhsa_exception_int_div_zero 0
	.end_amdhsa_kernel
	.section	.text._Z17warp_store_kernelILj256ELj8ELj64ELN6hipcub18WarpStoreAlgorithmE1EdEvPT3_,"axG",@progbits,_Z17warp_store_kernelILj256ELj8ELj64ELN6hipcub18WarpStoreAlgorithmE1EdEvPT3_,comdat
.Lfunc_end61:
	.size	_Z17warp_store_kernelILj256ELj8ELj64ELN6hipcub18WarpStoreAlgorithmE1EdEvPT3_, .Lfunc_end61-_Z17warp_store_kernelILj256ELj8ELj64ELN6hipcub18WarpStoreAlgorithmE1EdEvPT3_
                                        ; -- End function
	.set _Z17warp_store_kernelILj256ELj8ELj64ELN6hipcub18WarpStoreAlgorithmE1EdEvPT3_.num_vgpr, 18
	.set _Z17warp_store_kernelILj256ELj8ELj64ELN6hipcub18WarpStoreAlgorithmE1EdEvPT3_.num_agpr, 0
	.set _Z17warp_store_kernelILj256ELj8ELj64ELN6hipcub18WarpStoreAlgorithmE1EdEvPT3_.numbered_sgpr, 5
	.set _Z17warp_store_kernelILj256ELj8ELj64ELN6hipcub18WarpStoreAlgorithmE1EdEvPT3_.num_named_barrier, 0
	.set _Z17warp_store_kernelILj256ELj8ELj64ELN6hipcub18WarpStoreAlgorithmE1EdEvPT3_.private_seg_size, 0
	.set _Z17warp_store_kernelILj256ELj8ELj64ELN6hipcub18WarpStoreAlgorithmE1EdEvPT3_.uses_vcc, 0
	.set _Z17warp_store_kernelILj256ELj8ELj64ELN6hipcub18WarpStoreAlgorithmE1EdEvPT3_.uses_flat_scratch, 0
	.set _Z17warp_store_kernelILj256ELj8ELj64ELN6hipcub18WarpStoreAlgorithmE1EdEvPT3_.has_dyn_sized_stack, 0
	.set _Z17warp_store_kernelILj256ELj8ELj64ELN6hipcub18WarpStoreAlgorithmE1EdEvPT3_.has_recursion, 0
	.set _Z17warp_store_kernelILj256ELj8ELj64ELN6hipcub18WarpStoreAlgorithmE1EdEvPT3_.has_indirect_call, 0
	.section	.AMDGPU.csdata,"",@progbits
; Kernel info:
; codeLenInByte = 268
; TotalNumSgprs: 5
; NumVgprs: 18
; ScratchSize: 0
; MemoryBound: 1
; FloatMode: 240
; IeeeMode: 1
; LDSByteSize: 0 bytes/workgroup (compile time only)
; SGPRBlocks: 0
; VGPRBlocks: 1
; NumSGPRsForWavesPerEU: 5
; NumVGPRsForWavesPerEU: 18
; NamedBarCnt: 0
; Occupancy: 16
; WaveLimiterHint : 1
; COMPUTE_PGM_RSRC2:SCRATCH_EN: 0
; COMPUTE_PGM_RSRC2:USER_SGPR: 2
; COMPUTE_PGM_RSRC2:TRAP_HANDLER: 0
; COMPUTE_PGM_RSRC2:TGID_X_EN: 1
; COMPUTE_PGM_RSRC2:TGID_Y_EN: 0
; COMPUTE_PGM_RSRC2:TGID_Z_EN: 0
; COMPUTE_PGM_RSRC2:TIDIG_COMP_CNT: 0
	.section	.text._Z17warp_store_kernelILj256ELj8ELj64ELN6hipcub18WarpStoreAlgorithmE2EdEvPT3_,"axG",@progbits,_Z17warp_store_kernelILj256ELj8ELj64ELN6hipcub18WarpStoreAlgorithmE2EdEvPT3_,comdat
	.protected	_Z17warp_store_kernelILj256ELj8ELj64ELN6hipcub18WarpStoreAlgorithmE2EdEvPT3_ ; -- Begin function _Z17warp_store_kernelILj256ELj8ELj64ELN6hipcub18WarpStoreAlgorithmE2EdEvPT3_
	.globl	_Z17warp_store_kernelILj256ELj8ELj64ELN6hipcub18WarpStoreAlgorithmE2EdEvPT3_
	.p2align	8
	.type	_Z17warp_store_kernelILj256ELj8ELj64ELN6hipcub18WarpStoreAlgorithmE2EdEvPT3_,@function
_Z17warp_store_kernelILj256ELj8ELj64ELN6hipcub18WarpStoreAlgorithmE2EdEvPT3_: ; @_Z17warp_store_kernelILj256ELj8ELj64ELN6hipcub18WarpStoreAlgorithmE2EdEvPT3_
; %bb.0:
	s_load_b64 s[0:1], s[0:1], 0x0
	s_bfe_u32 s2, ttmp6, 0x4000c
	s_and_b32 s3, ttmp6, 15
	s_add_co_i32 s2, s2, 1
	s_getreg_b32 s4, hwreg(HW_REG_IB_STS2, 6, 4)
	s_mul_i32 s2, ttmp9, s2
	v_dual_mov_b32 v1, 0 :: v_dual_lshlrev_b32 v0, 3, v0
	s_add_co_i32 s3, s3, s2
	s_cmp_eq_u32 s4, 0
	v_mbcnt_lo_u32_b32 v2, -1, 0
	s_cselect_b32 s2, ttmp9, s3
	v_mov_b32_e32 v3, 0x3ff00000
	s_lshl_b32 s2, s2, 11
	v_mov_b32_e32 v5, 2.0
	v_and_or_b32 v0, 0x600, v0, s2
	v_mov_b32_e32 v11, 0x40140000
	v_dual_mov_b32 v7, 0x40080000 :: v_dual_mov_b32 v4, v1
	v_dual_mov_b32 v9, 0x40100000 :: v_dual_mov_b32 v6, v1
	s_wait_kmcnt 0x0
	v_lshl_add_u64 v[12:13], v[0:1], 3, s[0:1]
	v_dual_lshlrev_b32 v0, 6, v2 :: v_dual_mov_b32 v2, v1
	v_dual_mov_b32 v8, v1 :: v_dual_mov_b32 v10, v1
	v_dual_mov_b32 v15, 0x401c0000 :: v_dual_mov_b32 v14, v1
	s_delay_alu instid0(VALU_DEP_3)
	v_add_nc_u64_e32 v[16:17], v[12:13], v[0:1]
	v_dual_mov_b32 v0, v1 :: v_dual_mov_b32 v13, 0x40180000
	v_mov_b32_e32 v12, v1
	s_clause 0x3
	global_store_b128 v[16:17], v[0:3], off
	global_store_b128 v[16:17], v[4:7], off offset:16
	global_store_b128 v[16:17], v[8:11], off offset:32
	;; [unrolled: 1-line block ×3, first 2 shown]
	s_endpgm
	.section	.rodata,"a",@progbits
	.p2align	6, 0x0
	.amdhsa_kernel _Z17warp_store_kernelILj256ELj8ELj64ELN6hipcub18WarpStoreAlgorithmE2EdEvPT3_
		.amdhsa_group_segment_fixed_size 0
		.amdhsa_private_segment_fixed_size 0
		.amdhsa_kernarg_size 8
		.amdhsa_user_sgpr_count 2
		.amdhsa_user_sgpr_dispatch_ptr 0
		.amdhsa_user_sgpr_queue_ptr 0
		.amdhsa_user_sgpr_kernarg_segment_ptr 1
		.amdhsa_user_sgpr_dispatch_id 0
		.amdhsa_user_sgpr_kernarg_preload_length 0
		.amdhsa_user_sgpr_kernarg_preload_offset 0
		.amdhsa_user_sgpr_private_segment_size 0
		.amdhsa_wavefront_size32 1
		.amdhsa_uses_dynamic_stack 0
		.amdhsa_enable_private_segment 0
		.amdhsa_system_sgpr_workgroup_id_x 1
		.amdhsa_system_sgpr_workgroup_id_y 0
		.amdhsa_system_sgpr_workgroup_id_z 0
		.amdhsa_system_sgpr_workgroup_info 0
		.amdhsa_system_vgpr_workitem_id 0
		.amdhsa_next_free_vgpr 18
		.amdhsa_next_free_sgpr 5
		.amdhsa_named_barrier_count 0
		.amdhsa_reserve_vcc 0
		.amdhsa_float_round_mode_32 0
		.amdhsa_float_round_mode_16_64 0
		.amdhsa_float_denorm_mode_32 3
		.amdhsa_float_denorm_mode_16_64 3
		.amdhsa_fp16_overflow 0
		.amdhsa_memory_ordered 1
		.amdhsa_forward_progress 1
		.amdhsa_inst_pref_size 2
		.amdhsa_round_robin_scheduling 0
		.amdhsa_exception_fp_ieee_invalid_op 0
		.amdhsa_exception_fp_denorm_src 0
		.amdhsa_exception_fp_ieee_div_zero 0
		.amdhsa_exception_fp_ieee_overflow 0
		.amdhsa_exception_fp_ieee_underflow 0
		.amdhsa_exception_fp_ieee_inexact 0
		.amdhsa_exception_int_div_zero 0
	.end_amdhsa_kernel
	.section	.text._Z17warp_store_kernelILj256ELj8ELj64ELN6hipcub18WarpStoreAlgorithmE2EdEvPT3_,"axG",@progbits,_Z17warp_store_kernelILj256ELj8ELj64ELN6hipcub18WarpStoreAlgorithmE2EdEvPT3_,comdat
.Lfunc_end62:
	.size	_Z17warp_store_kernelILj256ELj8ELj64ELN6hipcub18WarpStoreAlgorithmE2EdEvPT3_, .Lfunc_end62-_Z17warp_store_kernelILj256ELj8ELj64ELN6hipcub18WarpStoreAlgorithmE2EdEvPT3_
                                        ; -- End function
	.set _Z17warp_store_kernelILj256ELj8ELj64ELN6hipcub18WarpStoreAlgorithmE2EdEvPT3_.num_vgpr, 18
	.set _Z17warp_store_kernelILj256ELj8ELj64ELN6hipcub18WarpStoreAlgorithmE2EdEvPT3_.num_agpr, 0
	.set _Z17warp_store_kernelILj256ELj8ELj64ELN6hipcub18WarpStoreAlgorithmE2EdEvPT3_.numbered_sgpr, 5
	.set _Z17warp_store_kernelILj256ELj8ELj64ELN6hipcub18WarpStoreAlgorithmE2EdEvPT3_.num_named_barrier, 0
	.set _Z17warp_store_kernelILj256ELj8ELj64ELN6hipcub18WarpStoreAlgorithmE2EdEvPT3_.private_seg_size, 0
	.set _Z17warp_store_kernelILj256ELj8ELj64ELN6hipcub18WarpStoreAlgorithmE2EdEvPT3_.uses_vcc, 0
	.set _Z17warp_store_kernelILj256ELj8ELj64ELN6hipcub18WarpStoreAlgorithmE2EdEvPT3_.uses_flat_scratch, 0
	.set _Z17warp_store_kernelILj256ELj8ELj64ELN6hipcub18WarpStoreAlgorithmE2EdEvPT3_.has_dyn_sized_stack, 0
	.set _Z17warp_store_kernelILj256ELj8ELj64ELN6hipcub18WarpStoreAlgorithmE2EdEvPT3_.has_recursion, 0
	.set _Z17warp_store_kernelILj256ELj8ELj64ELN6hipcub18WarpStoreAlgorithmE2EdEvPT3_.has_indirect_call, 0
	.section	.AMDGPU.csdata,"",@progbits
; Kernel info:
; codeLenInByte = 248
; TotalNumSgprs: 5
; NumVgprs: 18
; ScratchSize: 0
; MemoryBound: 1
; FloatMode: 240
; IeeeMode: 1
; LDSByteSize: 0 bytes/workgroup (compile time only)
; SGPRBlocks: 0
; VGPRBlocks: 1
; NumSGPRsForWavesPerEU: 5
; NumVGPRsForWavesPerEU: 18
; NamedBarCnt: 0
; Occupancy: 16
; WaveLimiterHint : 1
; COMPUTE_PGM_RSRC2:SCRATCH_EN: 0
; COMPUTE_PGM_RSRC2:USER_SGPR: 2
; COMPUTE_PGM_RSRC2:TRAP_HANDLER: 0
; COMPUTE_PGM_RSRC2:TGID_X_EN: 1
; COMPUTE_PGM_RSRC2:TGID_Y_EN: 0
; COMPUTE_PGM_RSRC2:TGID_Z_EN: 0
; COMPUTE_PGM_RSRC2:TIDIG_COMP_CNT: 0
	.section	.text._Z17warp_store_kernelILj256ELj8ELj64ELN6hipcub18WarpStoreAlgorithmE3EdEvPT3_,"axG",@progbits,_Z17warp_store_kernelILj256ELj8ELj64ELN6hipcub18WarpStoreAlgorithmE3EdEvPT3_,comdat
	.protected	_Z17warp_store_kernelILj256ELj8ELj64ELN6hipcub18WarpStoreAlgorithmE3EdEvPT3_ ; -- Begin function _Z17warp_store_kernelILj256ELj8ELj64ELN6hipcub18WarpStoreAlgorithmE3EdEvPT3_
	.globl	_Z17warp_store_kernelILj256ELj8ELj64ELN6hipcub18WarpStoreAlgorithmE3EdEvPT3_
	.p2align	8
	.type	_Z17warp_store_kernelILj256ELj8ELj64ELN6hipcub18WarpStoreAlgorithmE3EdEvPT3_,@function
_Z17warp_store_kernelILj256ELj8ELj64ELN6hipcub18WarpStoreAlgorithmE3EdEvPT3_: ; @_Z17warp_store_kernelILj256ELj8ELj64ELN6hipcub18WarpStoreAlgorithmE3EdEvPT3_
; %bb.0:
	s_load_b64 s[0:1], s[0:1], 0x0
	s_bfe_u32 s2, ttmp6, 0x4000c
	s_and_b32 s3, ttmp6, 15
	s_add_co_i32 s2, s2, 1
	s_getreg_b32 s4, hwreg(HW_REG_IB_STS2, 6, 4)
	s_mul_i32 s2, ttmp9, s2
	v_dual_mov_b32 v1, 0 :: v_dual_lshrrev_b32 v0, 6, v0
	s_add_co_i32 s3, s3, s2
	s_cmp_eq_u32 s4, 0
	v_mbcnt_lo_u32_b32 v4, -1, 0
	s_cselect_b32 s2, ttmp9, s3
	v_dual_mov_b32 v3, 0x3ff00000 :: v_dual_lshlrev_b32 v16, 12, v0
	s_lshl_b32 s2, s2, 11
	s_delay_alu instid0(VALU_DEP_2) | instskip(SKIP_1) | instid1(VALU_DEP_3)
	v_dual_lshlrev_b32 v18, 3, v4 :: v_dual_mov_b32 v2, v1
	v_lshl_or_b32 v0, v0, 9, s2
	v_lshl_or_b32 v17, v4, 6, v16
	v_dual_mov_b32 v7, 0x40080000 :: v_dual_mov_b32 v4, v1
	v_mov_b32_e32 v5, 2.0
	s_wait_kmcnt 0x0
	v_lshl_add_u64 v[20:21], v[0:1], 3, s[0:1]
	v_dual_mov_b32 v0, v1 :: v_dual_mov_b32 v6, v1
	v_mov_b32_e32 v9, 0x40100000
	v_dual_mov_b32 v11, 0x40140000 :: v_dual_mov_b32 v8, v1
	v_dual_mov_b32 v10, v1 :: v_dual_mov_b32 v13, 0x40180000
	v_mov_b32_e32 v14, v1
	ds_store_b128 v17, v[0:3]
	ds_store_b128 v17, v[4:7] offset:16
	v_or_b32_e32 v0, v16, v18
	v_dual_mov_b32 v15, 0x401c0000 :: v_dual_mov_b32 v12, v1
	ds_store_b128 v17, v[8:11] offset:32
	ds_store_b128 v17, v[12:15] offset:48
	; wave barrier
	ds_load_2addr_stride64_b64 v[2:5], v0 offset1:1
	ds_load_2addr_stride64_b64 v[6:9], v0 offset0:2 offset1:3
	ds_load_2addr_stride64_b64 v[10:13], v0 offset0:4 offset1:5
	;; [unrolled: 1-line block ×3, first 2 shown]
	v_mov_b32_e32 v19, v1
	s_delay_alu instid0(VALU_DEP_1)
	v_add_nc_u64_e32 v[0:1], v[20:21], v[18:19]
	s_wait_dscnt 0x3
	s_clause 0x1
	global_store_b64 v[0:1], v[2:3], off
	global_store_b64 v[0:1], v[4:5], off offset:512
	s_wait_dscnt 0x2
	s_clause 0x1
	global_store_b64 v[0:1], v[6:7], off offset:1024
	global_store_b64 v[0:1], v[8:9], off offset:1536
	s_wait_dscnt 0x1
	s_clause 0x1
	global_store_b64 v[0:1], v[10:11], off offset:2048
	global_store_b64 v[0:1], v[12:13], off offset:2560
	s_wait_dscnt 0x0
	s_clause 0x1
	global_store_b64 v[0:1], v[14:15], off offset:3072
	global_store_b64 v[0:1], v[16:17], off offset:3584
	s_endpgm
	.section	.rodata,"a",@progbits
	.p2align	6, 0x0
	.amdhsa_kernel _Z17warp_store_kernelILj256ELj8ELj64ELN6hipcub18WarpStoreAlgorithmE3EdEvPT3_
		.amdhsa_group_segment_fixed_size 16384
		.amdhsa_private_segment_fixed_size 0
		.amdhsa_kernarg_size 8
		.amdhsa_user_sgpr_count 2
		.amdhsa_user_sgpr_dispatch_ptr 0
		.amdhsa_user_sgpr_queue_ptr 0
		.amdhsa_user_sgpr_kernarg_segment_ptr 1
		.amdhsa_user_sgpr_dispatch_id 0
		.amdhsa_user_sgpr_kernarg_preload_length 0
		.amdhsa_user_sgpr_kernarg_preload_offset 0
		.amdhsa_user_sgpr_private_segment_size 0
		.amdhsa_wavefront_size32 1
		.amdhsa_uses_dynamic_stack 0
		.amdhsa_enable_private_segment 0
		.amdhsa_system_sgpr_workgroup_id_x 1
		.amdhsa_system_sgpr_workgroup_id_y 0
		.amdhsa_system_sgpr_workgroup_id_z 0
		.amdhsa_system_sgpr_workgroup_info 0
		.amdhsa_system_vgpr_workitem_id 0
		.amdhsa_next_free_vgpr 22
		.amdhsa_next_free_sgpr 5
		.amdhsa_named_barrier_count 0
		.amdhsa_reserve_vcc 0
		.amdhsa_float_round_mode_32 0
		.amdhsa_float_round_mode_16_64 0
		.amdhsa_float_denorm_mode_32 3
		.amdhsa_float_denorm_mode_16_64 3
		.amdhsa_fp16_overflow 0
		.amdhsa_memory_ordered 1
		.amdhsa_forward_progress 1
		.amdhsa_inst_pref_size 4
		.amdhsa_round_robin_scheduling 0
		.amdhsa_exception_fp_ieee_invalid_op 0
		.amdhsa_exception_fp_denorm_src 0
		.amdhsa_exception_fp_ieee_div_zero 0
		.amdhsa_exception_fp_ieee_overflow 0
		.amdhsa_exception_fp_ieee_underflow 0
		.amdhsa_exception_fp_ieee_inexact 0
		.amdhsa_exception_int_div_zero 0
	.end_amdhsa_kernel
	.section	.text._Z17warp_store_kernelILj256ELj8ELj64ELN6hipcub18WarpStoreAlgorithmE3EdEvPT3_,"axG",@progbits,_Z17warp_store_kernelILj256ELj8ELj64ELN6hipcub18WarpStoreAlgorithmE3EdEvPT3_,comdat
.Lfunc_end63:
	.size	_Z17warp_store_kernelILj256ELj8ELj64ELN6hipcub18WarpStoreAlgorithmE3EdEvPT3_, .Lfunc_end63-_Z17warp_store_kernelILj256ELj8ELj64ELN6hipcub18WarpStoreAlgorithmE3EdEvPT3_
                                        ; -- End function
	.set _Z17warp_store_kernelILj256ELj8ELj64ELN6hipcub18WarpStoreAlgorithmE3EdEvPT3_.num_vgpr, 22
	.set _Z17warp_store_kernelILj256ELj8ELj64ELN6hipcub18WarpStoreAlgorithmE3EdEvPT3_.num_agpr, 0
	.set _Z17warp_store_kernelILj256ELj8ELj64ELN6hipcub18WarpStoreAlgorithmE3EdEvPT3_.numbered_sgpr, 5
	.set _Z17warp_store_kernelILj256ELj8ELj64ELN6hipcub18WarpStoreAlgorithmE3EdEvPT3_.num_named_barrier, 0
	.set _Z17warp_store_kernelILj256ELj8ELj64ELN6hipcub18WarpStoreAlgorithmE3EdEvPT3_.private_seg_size, 0
	.set _Z17warp_store_kernelILj256ELj8ELj64ELN6hipcub18WarpStoreAlgorithmE3EdEvPT3_.uses_vcc, 0
	.set _Z17warp_store_kernelILj256ELj8ELj64ELN6hipcub18WarpStoreAlgorithmE3EdEvPT3_.uses_flat_scratch, 0
	.set _Z17warp_store_kernelILj256ELj8ELj64ELN6hipcub18WarpStoreAlgorithmE3EdEvPT3_.has_dyn_sized_stack, 0
	.set _Z17warp_store_kernelILj256ELj8ELj64ELN6hipcub18WarpStoreAlgorithmE3EdEvPT3_.has_recursion, 0
	.set _Z17warp_store_kernelILj256ELj8ELj64ELN6hipcub18WarpStoreAlgorithmE3EdEvPT3_.has_indirect_call, 0
	.section	.AMDGPU.csdata,"",@progbits
; Kernel info:
; codeLenInByte = 408
; TotalNumSgprs: 5
; NumVgprs: 22
; ScratchSize: 0
; MemoryBound: 1
; FloatMode: 240
; IeeeMode: 1
; LDSByteSize: 16384 bytes/workgroup (compile time only)
; SGPRBlocks: 0
; VGPRBlocks: 1
; NumSGPRsForWavesPerEU: 5
; NumVGPRsForWavesPerEU: 22
; NamedBarCnt: 0
; Occupancy: 16
; WaveLimiterHint : 1
; COMPUTE_PGM_RSRC2:SCRATCH_EN: 0
; COMPUTE_PGM_RSRC2:USER_SGPR: 2
; COMPUTE_PGM_RSRC2:TRAP_HANDLER: 0
; COMPUTE_PGM_RSRC2:TGID_X_EN: 1
; COMPUTE_PGM_RSRC2:TGID_Y_EN: 0
; COMPUTE_PGM_RSRC2:TGID_Z_EN: 0
; COMPUTE_PGM_RSRC2:TIDIG_COMP_CNT: 0
	.section	.text._Z17warp_store_kernelILj256ELj16ELj64ELN6hipcub18WarpStoreAlgorithmE0EdEvPT3_,"axG",@progbits,_Z17warp_store_kernelILj256ELj16ELj64ELN6hipcub18WarpStoreAlgorithmE0EdEvPT3_,comdat
	.protected	_Z17warp_store_kernelILj256ELj16ELj64ELN6hipcub18WarpStoreAlgorithmE0EdEvPT3_ ; -- Begin function _Z17warp_store_kernelILj256ELj16ELj64ELN6hipcub18WarpStoreAlgorithmE0EdEvPT3_
	.globl	_Z17warp_store_kernelILj256ELj16ELj64ELN6hipcub18WarpStoreAlgorithmE0EdEvPT3_
	.p2align	8
	.type	_Z17warp_store_kernelILj256ELj16ELj64ELN6hipcub18WarpStoreAlgorithmE0EdEvPT3_,@function
_Z17warp_store_kernelILj256ELj16ELj64ELN6hipcub18WarpStoreAlgorithmE0EdEvPT3_: ; @_Z17warp_store_kernelILj256ELj16ELj64ELN6hipcub18WarpStoreAlgorithmE0EdEvPT3_
; %bb.0:
	s_load_b64 s[0:1], s[0:1], 0x0
	s_bfe_u32 s2, ttmp6, 0x4000c
	s_and_b32 s3, ttmp6, 15
	s_add_co_i32 s2, s2, 1
	s_getreg_b32 s4, hwreg(HW_REG_IB_STS2, 6, 4)
	s_mul_i32 s2, ttmp9, s2
	v_dual_mov_b32 v1, 0 :: v_dual_lshlrev_b32 v0, 4, v0
	s_add_co_i32 s3, s3, s2
	s_cmp_eq_u32 s4, 0
	v_mbcnt_lo_u32_b32 v2, -1, 0
	s_cselect_b32 s2, ttmp9, s3
	v_mov_b32_e32 v3, 0x3ff00000
	s_lshl_b32 s2, s2, 12
	v_mov_b32_e32 v5, 2.0
	v_and_or_b32 v0, 0xc00, v0, s2
	v_mov_b32_e32 v9, 0x40100000
	v_dual_mov_b32 v7, 0x40080000 :: v_dual_mov_b32 v4, v1
	v_dual_mov_b32 v11, 0x40140000 :: v_dual_mov_b32 v6, v1
	s_wait_kmcnt 0x0
	v_lshl_add_u64 v[16:17], v[0:1], 3, s[0:1]
	v_dual_lshlrev_b32 v0, 7, v2 :: v_dual_mov_b32 v2, v1
	v_dual_mov_b32 v13, 0x40180000 :: v_dual_mov_b32 v8, v1
	v_dual_mov_b32 v15, 0x401c0000 :: v_dual_mov_b32 v10, v1
	s_delay_alu instid0(VALU_DEP_3)
	v_add_nc_u64_e32 v[28:29], v[16:17], v[0:1]
	v_dual_mov_b32 v0, v1 :: v_dual_mov_b32 v12, v1
	v_mov_b32_e32 v14, v1
	s_clause 0x1
	global_store_b128 v[28:29], v[0:3], off
	global_store_b128 v[28:29], v[4:7], off offset:16
	s_wait_xcnt 0x1
	v_dual_mov_b32 v3, 0x40200000 :: v_dual_mov_b32 v16, v1
	s_wait_xcnt 0x0
	v_dual_mov_b32 v5, 0x40220000 :: v_dual_mov_b32 v18, v1
	v_dual_mov_b32 v17, 0x40240000 :: v_dual_mov_b32 v20, v1
	;; [unrolled: 1-line block ×5, first 2 shown]
	v_mov_b32_e32 v25, 0x402c0000
	v_mov_b32_e32 v27, 0x402e0000
	s_clause 0x5
	global_store_b128 v[28:29], v[8:11], off offset:32
	global_store_b128 v[28:29], v[12:15], off offset:48
	;; [unrolled: 1-line block ×6, first 2 shown]
	s_endpgm
	.section	.rodata,"a",@progbits
	.p2align	6, 0x0
	.amdhsa_kernel _Z17warp_store_kernelILj256ELj16ELj64ELN6hipcub18WarpStoreAlgorithmE0EdEvPT3_
		.amdhsa_group_segment_fixed_size 0
		.amdhsa_private_segment_fixed_size 0
		.amdhsa_kernarg_size 8
		.amdhsa_user_sgpr_count 2
		.amdhsa_user_sgpr_dispatch_ptr 0
		.amdhsa_user_sgpr_queue_ptr 0
		.amdhsa_user_sgpr_kernarg_segment_ptr 1
		.amdhsa_user_sgpr_dispatch_id 0
		.amdhsa_user_sgpr_kernarg_preload_length 0
		.amdhsa_user_sgpr_kernarg_preload_offset 0
		.amdhsa_user_sgpr_private_segment_size 0
		.amdhsa_wavefront_size32 1
		.amdhsa_uses_dynamic_stack 0
		.amdhsa_enable_private_segment 0
		.amdhsa_system_sgpr_workgroup_id_x 1
		.amdhsa_system_sgpr_workgroup_id_y 0
		.amdhsa_system_sgpr_workgroup_id_z 0
		.amdhsa_system_sgpr_workgroup_info 0
		.amdhsa_system_vgpr_workitem_id 0
		.amdhsa_next_free_vgpr 30
		.amdhsa_next_free_sgpr 5
		.amdhsa_named_barrier_count 0
		.amdhsa_reserve_vcc 0
		.amdhsa_float_round_mode_32 0
		.amdhsa_float_round_mode_16_64 0
		.amdhsa_float_denorm_mode_32 3
		.amdhsa_float_denorm_mode_16_64 3
		.amdhsa_fp16_overflow 0
		.amdhsa_memory_ordered 1
		.amdhsa_forward_progress 1
		.amdhsa_inst_pref_size 4
		.amdhsa_round_robin_scheduling 0
		.amdhsa_exception_fp_ieee_invalid_op 0
		.amdhsa_exception_fp_denorm_src 0
		.amdhsa_exception_fp_ieee_div_zero 0
		.amdhsa_exception_fp_ieee_overflow 0
		.amdhsa_exception_fp_ieee_underflow 0
		.amdhsa_exception_fp_ieee_inexact 0
		.amdhsa_exception_int_div_zero 0
	.end_amdhsa_kernel
	.section	.text._Z17warp_store_kernelILj256ELj16ELj64ELN6hipcub18WarpStoreAlgorithmE0EdEvPT3_,"axG",@progbits,_Z17warp_store_kernelILj256ELj16ELj64ELN6hipcub18WarpStoreAlgorithmE0EdEvPT3_,comdat
.Lfunc_end64:
	.size	_Z17warp_store_kernelILj256ELj16ELj64ELN6hipcub18WarpStoreAlgorithmE0EdEvPT3_, .Lfunc_end64-_Z17warp_store_kernelILj256ELj16ELj64ELN6hipcub18WarpStoreAlgorithmE0EdEvPT3_
                                        ; -- End function
	.set _Z17warp_store_kernelILj256ELj16ELj64ELN6hipcub18WarpStoreAlgorithmE0EdEvPT3_.num_vgpr, 30
	.set _Z17warp_store_kernelILj256ELj16ELj64ELN6hipcub18WarpStoreAlgorithmE0EdEvPT3_.num_agpr, 0
	.set _Z17warp_store_kernelILj256ELj16ELj64ELN6hipcub18WarpStoreAlgorithmE0EdEvPT3_.numbered_sgpr, 5
	.set _Z17warp_store_kernelILj256ELj16ELj64ELN6hipcub18WarpStoreAlgorithmE0EdEvPT3_.num_named_barrier, 0
	.set _Z17warp_store_kernelILj256ELj16ELj64ELN6hipcub18WarpStoreAlgorithmE0EdEvPT3_.private_seg_size, 0
	.set _Z17warp_store_kernelILj256ELj16ELj64ELN6hipcub18WarpStoreAlgorithmE0EdEvPT3_.uses_vcc, 0
	.set _Z17warp_store_kernelILj256ELj16ELj64ELN6hipcub18WarpStoreAlgorithmE0EdEvPT3_.uses_flat_scratch, 0
	.set _Z17warp_store_kernelILj256ELj16ELj64ELN6hipcub18WarpStoreAlgorithmE0EdEvPT3_.has_dyn_sized_stack, 0
	.set _Z17warp_store_kernelILj256ELj16ELj64ELN6hipcub18WarpStoreAlgorithmE0EdEvPT3_.has_recursion, 0
	.set _Z17warp_store_kernelILj256ELj16ELj64ELN6hipcub18WarpStoreAlgorithmE0EdEvPT3_.has_indirect_call, 0
	.section	.AMDGPU.csdata,"",@progbits
; Kernel info:
; codeLenInByte = 396
; TotalNumSgprs: 5
; NumVgprs: 30
; ScratchSize: 0
; MemoryBound: 1
; FloatMode: 240
; IeeeMode: 1
; LDSByteSize: 0 bytes/workgroup (compile time only)
; SGPRBlocks: 0
; VGPRBlocks: 1
; NumSGPRsForWavesPerEU: 5
; NumVGPRsForWavesPerEU: 30
; NamedBarCnt: 0
; Occupancy: 16
; WaveLimiterHint : 1
; COMPUTE_PGM_RSRC2:SCRATCH_EN: 0
; COMPUTE_PGM_RSRC2:USER_SGPR: 2
; COMPUTE_PGM_RSRC2:TRAP_HANDLER: 0
; COMPUTE_PGM_RSRC2:TGID_X_EN: 1
; COMPUTE_PGM_RSRC2:TGID_Y_EN: 0
; COMPUTE_PGM_RSRC2:TGID_Z_EN: 0
; COMPUTE_PGM_RSRC2:TIDIG_COMP_CNT: 0
	.section	.text._Z17warp_store_kernelILj256ELj16ELj64ELN6hipcub18WarpStoreAlgorithmE1EdEvPT3_,"axG",@progbits,_Z17warp_store_kernelILj256ELj16ELj64ELN6hipcub18WarpStoreAlgorithmE1EdEvPT3_,comdat
	.protected	_Z17warp_store_kernelILj256ELj16ELj64ELN6hipcub18WarpStoreAlgorithmE1EdEvPT3_ ; -- Begin function _Z17warp_store_kernelILj256ELj16ELj64ELN6hipcub18WarpStoreAlgorithmE1EdEvPT3_
	.globl	_Z17warp_store_kernelILj256ELj16ELj64ELN6hipcub18WarpStoreAlgorithmE1EdEvPT3_
	.p2align	8
	.type	_Z17warp_store_kernelILj256ELj16ELj64ELN6hipcub18WarpStoreAlgorithmE1EdEvPT3_,@function
_Z17warp_store_kernelILj256ELj16ELj64ELN6hipcub18WarpStoreAlgorithmE1EdEvPT3_: ; @_Z17warp_store_kernelILj256ELj16ELj64ELN6hipcub18WarpStoreAlgorithmE1EdEvPT3_
; %bb.0:
	s_load_b64 s[0:1], s[0:1], 0x0
	s_bfe_u32 s2, ttmp6, 0x4000c
	s_and_b32 s3, ttmp6, 15
	s_add_co_i32 s2, s2, 1
	s_getreg_b32 s4, hwreg(HW_REG_IB_STS2, 6, 4)
	s_mul_i32 s2, ttmp9, s2
	v_dual_mov_b32 v1, 0 :: v_dual_lshlrev_b32 v0, 4, v0
	s_add_co_i32 s3, s3, s2
	s_cmp_eq_u32 s4, 0
	v_mbcnt_lo_u32_b32 v4, -1, 0
	s_cselect_b32 s2, ttmp9, s3
	v_mov_b64_e32 v[6:7], 1.0
	s_lshl_b32 s2, s2, 12
	v_mov_b64_e32 v[8:9], 0x4008000000000000
	v_and_or_b32 v0, 0xc00, v0, s2
	v_mov_b64_e32 v[10:11], 4.0
	v_mov_b64_e32 v[12:13], 0x4014000000000000
	v_mov_b64_e32 v[14:15], 0x4018000000000000
	;; [unrolled: 1-line block ×3, first 2 shown]
	s_wait_kmcnt 0x0
	v_lshl_add_u64 v[2:3], v[0:1], 3, s[0:1]
	v_lshlrev_b32_e32 v0, 3, v4
	v_mov_b64_e32 v[4:5], 0
	s_delay_alu instid0(VALU_DEP_2)
	v_add_nc_u64_e32 v[0:1], v[2:3], v[0:1]
	v_mov_b64_e32 v[2:3], 2.0
	s_clause 0x7
	global_store_b64 v[0:1], v[4:5], off
	global_store_b64 v[0:1], v[6:7], off offset:512
	global_store_b64 v[0:1], v[2:3], off offset:1024
	;; [unrolled: 1-line block ×7, first 2 shown]
	s_wait_xcnt 0x5
	v_mov_b64_e32 v[2:3], 0x4020000000000000
	v_mov_b64_e32 v[4:5], 0x4022000000000000
	;; [unrolled: 1-line block ×3, first 2 shown]
	s_wait_xcnt 0x4
	v_mov_b64_e32 v[8:9], 0x4026000000000000
	s_wait_xcnt 0x3
	v_mov_b64_e32 v[10:11], 0x4028000000000000
	;; [unrolled: 2-line block ×5, first 2 shown]
	s_clause 0x7
	global_store_b64 v[0:1], v[2:3], off offset:4096
	global_store_b64 v[0:1], v[4:5], off offset:4608
	;; [unrolled: 1-line block ×8, first 2 shown]
	s_endpgm
	.section	.rodata,"a",@progbits
	.p2align	6, 0x0
	.amdhsa_kernel _Z17warp_store_kernelILj256ELj16ELj64ELN6hipcub18WarpStoreAlgorithmE1EdEvPT3_
		.amdhsa_group_segment_fixed_size 0
		.amdhsa_private_segment_fixed_size 0
		.amdhsa_kernarg_size 8
		.amdhsa_user_sgpr_count 2
		.amdhsa_user_sgpr_dispatch_ptr 0
		.amdhsa_user_sgpr_queue_ptr 0
		.amdhsa_user_sgpr_kernarg_segment_ptr 1
		.amdhsa_user_sgpr_dispatch_id 0
		.amdhsa_user_sgpr_kernarg_preload_length 0
		.amdhsa_user_sgpr_kernarg_preload_offset 0
		.amdhsa_user_sgpr_private_segment_size 0
		.amdhsa_wavefront_size32 1
		.amdhsa_uses_dynamic_stack 0
		.amdhsa_enable_private_segment 0
		.amdhsa_system_sgpr_workgroup_id_x 1
		.amdhsa_system_sgpr_workgroup_id_y 0
		.amdhsa_system_sgpr_workgroup_id_z 0
		.amdhsa_system_sgpr_workgroup_info 0
		.amdhsa_system_vgpr_workitem_id 0
		.amdhsa_next_free_vgpr 18
		.amdhsa_next_free_sgpr 5
		.amdhsa_named_barrier_count 0
		.amdhsa_reserve_vcc 0
		.amdhsa_float_round_mode_32 0
		.amdhsa_float_round_mode_16_64 0
		.amdhsa_float_denorm_mode_32 3
		.amdhsa_float_denorm_mode_16_64 3
		.amdhsa_fp16_overflow 0
		.amdhsa_memory_ordered 1
		.amdhsa_forward_progress 1
		.amdhsa_inst_pref_size 4
		.amdhsa_round_robin_scheduling 0
		.amdhsa_exception_fp_ieee_invalid_op 0
		.amdhsa_exception_fp_denorm_src 0
		.amdhsa_exception_fp_ieee_div_zero 0
		.amdhsa_exception_fp_ieee_overflow 0
		.amdhsa_exception_fp_ieee_underflow 0
		.amdhsa_exception_fp_ieee_inexact 0
		.amdhsa_exception_int_div_zero 0
	.end_amdhsa_kernel
	.section	.text._Z17warp_store_kernelILj256ELj16ELj64ELN6hipcub18WarpStoreAlgorithmE1EdEvPT3_,"axG",@progbits,_Z17warp_store_kernelILj256ELj16ELj64ELN6hipcub18WarpStoreAlgorithmE1EdEvPT3_,comdat
.Lfunc_end65:
	.size	_Z17warp_store_kernelILj256ELj16ELj64ELN6hipcub18WarpStoreAlgorithmE1EdEvPT3_, .Lfunc_end65-_Z17warp_store_kernelILj256ELj16ELj64ELN6hipcub18WarpStoreAlgorithmE1EdEvPT3_
                                        ; -- End function
	.set _Z17warp_store_kernelILj256ELj16ELj64ELN6hipcub18WarpStoreAlgorithmE1EdEvPT3_.num_vgpr, 18
	.set _Z17warp_store_kernelILj256ELj16ELj64ELN6hipcub18WarpStoreAlgorithmE1EdEvPT3_.num_agpr, 0
	.set _Z17warp_store_kernelILj256ELj16ELj64ELN6hipcub18WarpStoreAlgorithmE1EdEvPT3_.numbered_sgpr, 5
	.set _Z17warp_store_kernelILj256ELj16ELj64ELN6hipcub18WarpStoreAlgorithmE1EdEvPT3_.num_named_barrier, 0
	.set _Z17warp_store_kernelILj256ELj16ELj64ELN6hipcub18WarpStoreAlgorithmE1EdEvPT3_.private_seg_size, 0
	.set _Z17warp_store_kernelILj256ELj16ELj64ELN6hipcub18WarpStoreAlgorithmE1EdEvPT3_.uses_vcc, 0
	.set _Z17warp_store_kernelILj256ELj16ELj64ELN6hipcub18WarpStoreAlgorithmE1EdEvPT3_.uses_flat_scratch, 0
	.set _Z17warp_store_kernelILj256ELj16ELj64ELN6hipcub18WarpStoreAlgorithmE1EdEvPT3_.has_dyn_sized_stack, 0
	.set _Z17warp_store_kernelILj256ELj16ELj64ELN6hipcub18WarpStoreAlgorithmE1EdEvPT3_.has_recursion, 0
	.set _Z17warp_store_kernelILj256ELj16ELj64ELN6hipcub18WarpStoreAlgorithmE1EdEvPT3_.has_indirect_call, 0
	.section	.AMDGPU.csdata,"",@progbits
; Kernel info:
; codeLenInByte = 488
; TotalNumSgprs: 5
; NumVgprs: 18
; ScratchSize: 0
; MemoryBound: 1
; FloatMode: 240
; IeeeMode: 1
; LDSByteSize: 0 bytes/workgroup (compile time only)
; SGPRBlocks: 0
; VGPRBlocks: 1
; NumSGPRsForWavesPerEU: 5
; NumVGPRsForWavesPerEU: 18
; NamedBarCnt: 0
; Occupancy: 16
; WaveLimiterHint : 1
; COMPUTE_PGM_RSRC2:SCRATCH_EN: 0
; COMPUTE_PGM_RSRC2:USER_SGPR: 2
; COMPUTE_PGM_RSRC2:TRAP_HANDLER: 0
; COMPUTE_PGM_RSRC2:TGID_X_EN: 1
; COMPUTE_PGM_RSRC2:TGID_Y_EN: 0
; COMPUTE_PGM_RSRC2:TGID_Z_EN: 0
; COMPUTE_PGM_RSRC2:TIDIG_COMP_CNT: 0
	.section	.text._Z17warp_store_kernelILj256ELj16ELj64ELN6hipcub18WarpStoreAlgorithmE2EdEvPT3_,"axG",@progbits,_Z17warp_store_kernelILj256ELj16ELj64ELN6hipcub18WarpStoreAlgorithmE2EdEvPT3_,comdat
	.protected	_Z17warp_store_kernelILj256ELj16ELj64ELN6hipcub18WarpStoreAlgorithmE2EdEvPT3_ ; -- Begin function _Z17warp_store_kernelILj256ELj16ELj64ELN6hipcub18WarpStoreAlgorithmE2EdEvPT3_
	.globl	_Z17warp_store_kernelILj256ELj16ELj64ELN6hipcub18WarpStoreAlgorithmE2EdEvPT3_
	.p2align	8
	.type	_Z17warp_store_kernelILj256ELj16ELj64ELN6hipcub18WarpStoreAlgorithmE2EdEvPT3_,@function
_Z17warp_store_kernelILj256ELj16ELj64ELN6hipcub18WarpStoreAlgorithmE2EdEvPT3_: ; @_Z17warp_store_kernelILj256ELj16ELj64ELN6hipcub18WarpStoreAlgorithmE2EdEvPT3_
; %bb.0:
	s_load_b64 s[0:1], s[0:1], 0x0
	s_bfe_u32 s2, ttmp6, 0x4000c
	s_and_b32 s3, ttmp6, 15
	s_add_co_i32 s2, s2, 1
	s_getreg_b32 s4, hwreg(HW_REG_IB_STS2, 6, 4)
	s_mul_i32 s2, ttmp9, s2
	v_dual_mov_b32 v1, 0 :: v_dual_lshlrev_b32 v0, 4, v0
	s_add_co_i32 s3, s3, s2
	s_cmp_eq_u32 s4, 0
	v_mbcnt_lo_u32_b32 v2, -1, 0
	s_cselect_b32 s2, ttmp9, s3
	v_mov_b32_e32 v3, 0x3ff00000
	s_lshl_b32 s2, s2, 12
	v_mov_b32_e32 v5, 2.0
	v_and_or_b32 v0, 0xc00, v0, s2
	v_mov_b32_e32 v9, 0x40100000
	v_dual_mov_b32 v7, 0x40080000 :: v_dual_mov_b32 v4, v1
	v_dual_mov_b32 v11, 0x40140000 :: v_dual_mov_b32 v6, v1
	s_wait_kmcnt 0x0
	v_lshl_add_u64 v[16:17], v[0:1], 3, s[0:1]
	v_dual_lshlrev_b32 v0, 7, v2 :: v_dual_mov_b32 v2, v1
	v_dual_mov_b32 v13, 0x40180000 :: v_dual_mov_b32 v8, v1
	v_dual_mov_b32 v15, 0x401c0000 :: v_dual_mov_b32 v10, v1
	s_delay_alu instid0(VALU_DEP_3)
	v_add_nc_u64_e32 v[28:29], v[16:17], v[0:1]
	v_dual_mov_b32 v0, v1 :: v_dual_mov_b32 v12, v1
	v_mov_b32_e32 v14, v1
	s_clause 0x1
	global_store_b128 v[28:29], v[0:3], off
	global_store_b128 v[28:29], v[4:7], off offset:16
	s_wait_xcnt 0x1
	v_dual_mov_b32 v3, 0x40200000 :: v_dual_mov_b32 v16, v1
	s_wait_xcnt 0x0
	v_dual_mov_b32 v5, 0x40220000 :: v_dual_mov_b32 v18, v1
	v_dual_mov_b32 v17, 0x40240000 :: v_dual_mov_b32 v20, v1
	;; [unrolled: 1-line block ×5, first 2 shown]
	v_mov_b32_e32 v25, 0x402c0000
	v_mov_b32_e32 v27, 0x402e0000
	s_clause 0x5
	global_store_b128 v[28:29], v[8:11], off offset:32
	global_store_b128 v[28:29], v[12:15], off offset:48
	global_store_b128 v[28:29], v[2:5], off offset:64
	global_store_b128 v[28:29], v[16:19], off offset:80
	global_store_b128 v[28:29], v[20:23], off offset:96
	global_store_b128 v[28:29], v[24:27], off offset:112
	s_endpgm
	.section	.rodata,"a",@progbits
	.p2align	6, 0x0
	.amdhsa_kernel _Z17warp_store_kernelILj256ELj16ELj64ELN6hipcub18WarpStoreAlgorithmE2EdEvPT3_
		.amdhsa_group_segment_fixed_size 0
		.amdhsa_private_segment_fixed_size 0
		.amdhsa_kernarg_size 8
		.amdhsa_user_sgpr_count 2
		.amdhsa_user_sgpr_dispatch_ptr 0
		.amdhsa_user_sgpr_queue_ptr 0
		.amdhsa_user_sgpr_kernarg_segment_ptr 1
		.amdhsa_user_sgpr_dispatch_id 0
		.amdhsa_user_sgpr_kernarg_preload_length 0
		.amdhsa_user_sgpr_kernarg_preload_offset 0
		.amdhsa_user_sgpr_private_segment_size 0
		.amdhsa_wavefront_size32 1
		.amdhsa_uses_dynamic_stack 0
		.amdhsa_enable_private_segment 0
		.amdhsa_system_sgpr_workgroup_id_x 1
		.amdhsa_system_sgpr_workgroup_id_y 0
		.amdhsa_system_sgpr_workgroup_id_z 0
		.amdhsa_system_sgpr_workgroup_info 0
		.amdhsa_system_vgpr_workitem_id 0
		.amdhsa_next_free_vgpr 30
		.amdhsa_next_free_sgpr 5
		.amdhsa_named_barrier_count 0
		.amdhsa_reserve_vcc 0
		.amdhsa_float_round_mode_32 0
		.amdhsa_float_round_mode_16_64 0
		.amdhsa_float_denorm_mode_32 3
		.amdhsa_float_denorm_mode_16_64 3
		.amdhsa_fp16_overflow 0
		.amdhsa_memory_ordered 1
		.amdhsa_forward_progress 1
		.amdhsa_inst_pref_size 4
		.amdhsa_round_robin_scheduling 0
		.amdhsa_exception_fp_ieee_invalid_op 0
		.amdhsa_exception_fp_denorm_src 0
		.amdhsa_exception_fp_ieee_div_zero 0
		.amdhsa_exception_fp_ieee_overflow 0
		.amdhsa_exception_fp_ieee_underflow 0
		.amdhsa_exception_fp_ieee_inexact 0
		.amdhsa_exception_int_div_zero 0
	.end_amdhsa_kernel
	.section	.text._Z17warp_store_kernelILj256ELj16ELj64ELN6hipcub18WarpStoreAlgorithmE2EdEvPT3_,"axG",@progbits,_Z17warp_store_kernelILj256ELj16ELj64ELN6hipcub18WarpStoreAlgorithmE2EdEvPT3_,comdat
.Lfunc_end66:
	.size	_Z17warp_store_kernelILj256ELj16ELj64ELN6hipcub18WarpStoreAlgorithmE2EdEvPT3_, .Lfunc_end66-_Z17warp_store_kernelILj256ELj16ELj64ELN6hipcub18WarpStoreAlgorithmE2EdEvPT3_
                                        ; -- End function
	.set _Z17warp_store_kernelILj256ELj16ELj64ELN6hipcub18WarpStoreAlgorithmE2EdEvPT3_.num_vgpr, 30
	.set _Z17warp_store_kernelILj256ELj16ELj64ELN6hipcub18WarpStoreAlgorithmE2EdEvPT3_.num_agpr, 0
	.set _Z17warp_store_kernelILj256ELj16ELj64ELN6hipcub18WarpStoreAlgorithmE2EdEvPT3_.numbered_sgpr, 5
	.set _Z17warp_store_kernelILj256ELj16ELj64ELN6hipcub18WarpStoreAlgorithmE2EdEvPT3_.num_named_barrier, 0
	.set _Z17warp_store_kernelILj256ELj16ELj64ELN6hipcub18WarpStoreAlgorithmE2EdEvPT3_.private_seg_size, 0
	.set _Z17warp_store_kernelILj256ELj16ELj64ELN6hipcub18WarpStoreAlgorithmE2EdEvPT3_.uses_vcc, 0
	.set _Z17warp_store_kernelILj256ELj16ELj64ELN6hipcub18WarpStoreAlgorithmE2EdEvPT3_.uses_flat_scratch, 0
	.set _Z17warp_store_kernelILj256ELj16ELj64ELN6hipcub18WarpStoreAlgorithmE2EdEvPT3_.has_dyn_sized_stack, 0
	.set _Z17warp_store_kernelILj256ELj16ELj64ELN6hipcub18WarpStoreAlgorithmE2EdEvPT3_.has_recursion, 0
	.set _Z17warp_store_kernelILj256ELj16ELj64ELN6hipcub18WarpStoreAlgorithmE2EdEvPT3_.has_indirect_call, 0
	.section	.AMDGPU.csdata,"",@progbits
; Kernel info:
; codeLenInByte = 396
; TotalNumSgprs: 5
; NumVgprs: 30
; ScratchSize: 0
; MemoryBound: 1
; FloatMode: 240
; IeeeMode: 1
; LDSByteSize: 0 bytes/workgroup (compile time only)
; SGPRBlocks: 0
; VGPRBlocks: 1
; NumSGPRsForWavesPerEU: 5
; NumVGPRsForWavesPerEU: 30
; NamedBarCnt: 0
; Occupancy: 16
; WaveLimiterHint : 1
; COMPUTE_PGM_RSRC2:SCRATCH_EN: 0
; COMPUTE_PGM_RSRC2:USER_SGPR: 2
; COMPUTE_PGM_RSRC2:TRAP_HANDLER: 0
; COMPUTE_PGM_RSRC2:TGID_X_EN: 1
; COMPUTE_PGM_RSRC2:TGID_Y_EN: 0
; COMPUTE_PGM_RSRC2:TGID_Z_EN: 0
; COMPUTE_PGM_RSRC2:TIDIG_COMP_CNT: 0
	.section	.text._Z17warp_store_kernelILj256ELj32ELj64ELN6hipcub18WarpStoreAlgorithmE0EdEvPT3_,"axG",@progbits,_Z17warp_store_kernelILj256ELj32ELj64ELN6hipcub18WarpStoreAlgorithmE0EdEvPT3_,comdat
	.protected	_Z17warp_store_kernelILj256ELj32ELj64ELN6hipcub18WarpStoreAlgorithmE0EdEvPT3_ ; -- Begin function _Z17warp_store_kernelILj256ELj32ELj64ELN6hipcub18WarpStoreAlgorithmE0EdEvPT3_
	.globl	_Z17warp_store_kernelILj256ELj32ELj64ELN6hipcub18WarpStoreAlgorithmE0EdEvPT3_
	.p2align	8
	.type	_Z17warp_store_kernelILj256ELj32ELj64ELN6hipcub18WarpStoreAlgorithmE0EdEvPT3_,@function
_Z17warp_store_kernelILj256ELj32ELj64ELN6hipcub18WarpStoreAlgorithmE0EdEvPT3_: ; @_Z17warp_store_kernelILj256ELj32ELj64ELN6hipcub18WarpStoreAlgorithmE0EdEvPT3_
; %bb.0:
	s_load_b64 s[0:1], s[0:1], 0x0
	s_bfe_u32 s2, ttmp6, 0x4000c
	s_and_b32 s3, ttmp6, 15
	s_add_co_i32 s2, s2, 1
	s_getreg_b32 s4, hwreg(HW_REG_IB_STS2, 6, 4)
	s_mul_i32 s2, ttmp9, s2
	v_dual_mov_b32 v1, 0 :: v_dual_lshlrev_b32 v0, 5, v0
	s_add_co_i32 s3, s3, s2
	s_cmp_eq_u32 s4, 0
	v_mbcnt_lo_u32_b32 v2, -1, 0
	s_cselect_b32 s2, ttmp9, s3
	v_mov_b32_e32 v3, 0x3ff00000
	s_lshl_b32 s2, s2, 13
	v_mov_b32_e32 v5, 2.0
	v_and_or_b32 v0, 0x1800, v0, s2
	v_mov_b32_e32 v11, 0x40140000
	v_dual_mov_b32 v7, 0x40080000 :: v_dual_mov_b32 v4, v1
	v_dual_mov_b32 v9, 0x40100000 :: v_dual_mov_b32 v6, v1
	s_wait_kmcnt 0x0
	v_lshl_add_u64 v[12:13], v[0:1], 3, s[0:1]
	v_dual_lshlrev_b32 v0, 8, v2 :: v_dual_mov_b32 v2, v1
	v_dual_mov_b32 v8, v1 :: v_dual_mov_b32 v10, v1
	v_dual_mov_b32 v15, 0x401c0000 :: v_dual_mov_b32 v14, v1
	s_delay_alu instid0(VALU_DEP_3)
	v_add_nc_u64_e32 v[26:27], v[12:13], v[0:1]
	v_dual_mov_b32 v0, v1 :: v_dual_mov_b32 v13, 0x40180000
	v_mov_b32_e32 v12, v1
	s_clause 0x3
	global_store_b128 v[26:27], v[0:3], off
	global_store_b128 v[26:27], v[4:7], off offset:16
	global_store_b128 v[26:27], v[8:11], off offset:32
	;; [unrolled: 1-line block ×3, first 2 shown]
	s_wait_xcnt 0x3
	v_dual_mov_b32 v3, 0x40200000 :: v_dual_mov_b32 v16, v1
	s_wait_xcnt 0x2
	v_dual_mov_b32 v5, 0x40220000 :: v_dual_mov_b32 v18, v1
	v_dual_mov_b32 v7, 0x40240000 :: v_dual_mov_b32 v20, v1
	s_wait_xcnt 0x1
	v_dual_mov_b32 v9, 0x40260000 :: v_dual_mov_b32 v22, v1
	v_dual_mov_b32 v11, 0x40280000 :: v_dual_mov_b32 v24, v1
	s_wait_xcnt 0x0
	v_mov_b32_e32 v13, 0x402a0000
	v_mov_b32_e32 v15, 0x402c0000
	;; [unrolled: 1-line block ×7, first 2 shown]
	s_clause 0x5
	global_store_b128 v[26:27], v[2:5], off offset:64
	global_store_b128 v[26:27], v[6:9], off offset:80
	;; [unrolled: 1-line block ×6, first 2 shown]
	s_wait_xcnt 0x5
	v_mov_b32_e32 v3, 0x40340000
	v_mov_b32_e32 v5, 0x40350000
	s_wait_xcnt 0x4
	v_mov_b32_e32 v7, 0x40360000
	v_mov_b32_e32 v9, 0x40370000
	;; [unrolled: 3-line block ×6, first 2 shown]
	s_clause 0x5
	global_store_b128 v[26:27], v[2:5], off offset:160
	global_store_b128 v[26:27], v[6:9], off offset:176
	;; [unrolled: 1-line block ×6, first 2 shown]
	s_endpgm
	.section	.rodata,"a",@progbits
	.p2align	6, 0x0
	.amdhsa_kernel _Z17warp_store_kernelILj256ELj32ELj64ELN6hipcub18WarpStoreAlgorithmE0EdEvPT3_
		.amdhsa_group_segment_fixed_size 0
		.amdhsa_private_segment_fixed_size 0
		.amdhsa_kernarg_size 8
		.amdhsa_user_sgpr_count 2
		.amdhsa_user_sgpr_dispatch_ptr 0
		.amdhsa_user_sgpr_queue_ptr 0
		.amdhsa_user_sgpr_kernarg_segment_ptr 1
		.amdhsa_user_sgpr_dispatch_id 0
		.amdhsa_user_sgpr_kernarg_preload_length 0
		.amdhsa_user_sgpr_kernarg_preload_offset 0
		.amdhsa_user_sgpr_private_segment_size 0
		.amdhsa_wavefront_size32 1
		.amdhsa_uses_dynamic_stack 0
		.amdhsa_enable_private_segment 0
		.amdhsa_system_sgpr_workgroup_id_x 1
		.amdhsa_system_sgpr_workgroup_id_y 0
		.amdhsa_system_sgpr_workgroup_id_z 0
		.amdhsa_system_sgpr_workgroup_info 0
		.amdhsa_system_vgpr_workitem_id 0
		.amdhsa_next_free_vgpr 28
		.amdhsa_next_free_sgpr 5
		.amdhsa_named_barrier_count 0
		.amdhsa_reserve_vcc 0
		.amdhsa_float_round_mode_32 0
		.amdhsa_float_round_mode_16_64 0
		.amdhsa_float_denorm_mode_32 3
		.amdhsa_float_denorm_mode_16_64 3
		.amdhsa_fp16_overflow 0
		.amdhsa_memory_ordered 1
		.amdhsa_forward_progress 1
		.amdhsa_inst_pref_size 6
		.amdhsa_round_robin_scheduling 0
		.amdhsa_exception_fp_ieee_invalid_op 0
		.amdhsa_exception_fp_denorm_src 0
		.amdhsa_exception_fp_ieee_div_zero 0
		.amdhsa_exception_fp_ieee_overflow 0
		.amdhsa_exception_fp_ieee_underflow 0
		.amdhsa_exception_fp_ieee_inexact 0
		.amdhsa_exception_int_div_zero 0
	.end_amdhsa_kernel
	.section	.text._Z17warp_store_kernelILj256ELj32ELj64ELN6hipcub18WarpStoreAlgorithmE0EdEvPT3_,"axG",@progbits,_Z17warp_store_kernelILj256ELj32ELj64ELN6hipcub18WarpStoreAlgorithmE0EdEvPT3_,comdat
.Lfunc_end67:
	.size	_Z17warp_store_kernelILj256ELj32ELj64ELN6hipcub18WarpStoreAlgorithmE0EdEvPT3_, .Lfunc_end67-_Z17warp_store_kernelILj256ELj32ELj64ELN6hipcub18WarpStoreAlgorithmE0EdEvPT3_
                                        ; -- End function
	.set _Z17warp_store_kernelILj256ELj32ELj64ELN6hipcub18WarpStoreAlgorithmE0EdEvPT3_.num_vgpr, 28
	.set _Z17warp_store_kernelILj256ELj32ELj64ELN6hipcub18WarpStoreAlgorithmE0EdEvPT3_.num_agpr, 0
	.set _Z17warp_store_kernelILj256ELj32ELj64ELN6hipcub18WarpStoreAlgorithmE0EdEvPT3_.numbered_sgpr, 5
	.set _Z17warp_store_kernelILj256ELj32ELj64ELN6hipcub18WarpStoreAlgorithmE0EdEvPT3_.num_named_barrier, 0
	.set _Z17warp_store_kernelILj256ELj32ELj64ELN6hipcub18WarpStoreAlgorithmE0EdEvPT3_.private_seg_size, 0
	.set _Z17warp_store_kernelILj256ELj32ELj64ELN6hipcub18WarpStoreAlgorithmE0EdEvPT3_.uses_vcc, 0
	.set _Z17warp_store_kernelILj256ELj32ELj64ELN6hipcub18WarpStoreAlgorithmE0EdEvPT3_.uses_flat_scratch, 0
	.set _Z17warp_store_kernelILj256ELj32ELj64ELN6hipcub18WarpStoreAlgorithmE0EdEvPT3_.has_dyn_sized_stack, 0
	.set _Z17warp_store_kernelILj256ELj32ELj64ELN6hipcub18WarpStoreAlgorithmE0EdEvPT3_.has_recursion, 0
	.set _Z17warp_store_kernelILj256ELj32ELj64ELN6hipcub18WarpStoreAlgorithmE0EdEvPT3_.has_indirect_call, 0
	.section	.AMDGPU.csdata,"",@progbits
; Kernel info:
; codeLenInByte = 652
; TotalNumSgprs: 5
; NumVgprs: 28
; ScratchSize: 0
; MemoryBound: 1
; FloatMode: 240
; IeeeMode: 1
; LDSByteSize: 0 bytes/workgroup (compile time only)
; SGPRBlocks: 0
; VGPRBlocks: 1
; NumSGPRsForWavesPerEU: 5
; NumVGPRsForWavesPerEU: 28
; NamedBarCnt: 0
; Occupancy: 16
; WaveLimiterHint : 1
; COMPUTE_PGM_RSRC2:SCRATCH_EN: 0
; COMPUTE_PGM_RSRC2:USER_SGPR: 2
; COMPUTE_PGM_RSRC2:TRAP_HANDLER: 0
; COMPUTE_PGM_RSRC2:TGID_X_EN: 1
; COMPUTE_PGM_RSRC2:TGID_Y_EN: 0
; COMPUTE_PGM_RSRC2:TGID_Z_EN: 0
; COMPUTE_PGM_RSRC2:TIDIG_COMP_CNT: 0
	.section	.text._Z17warp_store_kernelILj256ELj32ELj64ELN6hipcub18WarpStoreAlgorithmE1EdEvPT3_,"axG",@progbits,_Z17warp_store_kernelILj256ELj32ELj64ELN6hipcub18WarpStoreAlgorithmE1EdEvPT3_,comdat
	.protected	_Z17warp_store_kernelILj256ELj32ELj64ELN6hipcub18WarpStoreAlgorithmE1EdEvPT3_ ; -- Begin function _Z17warp_store_kernelILj256ELj32ELj64ELN6hipcub18WarpStoreAlgorithmE1EdEvPT3_
	.globl	_Z17warp_store_kernelILj256ELj32ELj64ELN6hipcub18WarpStoreAlgorithmE1EdEvPT3_
	.p2align	8
	.type	_Z17warp_store_kernelILj256ELj32ELj64ELN6hipcub18WarpStoreAlgorithmE1EdEvPT3_,@function
_Z17warp_store_kernelILj256ELj32ELj64ELN6hipcub18WarpStoreAlgorithmE1EdEvPT3_: ; @_Z17warp_store_kernelILj256ELj32ELj64ELN6hipcub18WarpStoreAlgorithmE1EdEvPT3_
; %bb.0:
	s_load_b64 s[0:1], s[0:1], 0x0
	s_bfe_u32 s2, ttmp6, 0x4000c
	s_and_b32 s3, ttmp6, 15
	s_add_co_i32 s2, s2, 1
	s_getreg_b32 s4, hwreg(HW_REG_IB_STS2, 6, 4)
	s_mul_i32 s2, ttmp9, s2
	v_dual_mov_b32 v1, 0 :: v_dual_lshlrev_b32 v0, 5, v0
	s_add_co_i32 s3, s3, s2
	s_cmp_eq_u32 s4, 0
	v_mbcnt_lo_u32_b32 v4, -1, 0
	s_cselect_b32 s2, ttmp9, s3
	v_mov_b64_e32 v[6:7], 1.0
	s_lshl_b32 s2, s2, 13
	v_mov_b64_e32 v[8:9], 0x4008000000000000
	v_and_or_b32 v0, 0x1800, v0, s2
	v_mov_b64_e32 v[10:11], 4.0
	v_mov_b64_e32 v[12:13], 0x4014000000000000
	v_mov_b64_e32 v[14:15], 0x4018000000000000
	;; [unrolled: 1-line block ×3, first 2 shown]
	s_wait_kmcnt 0x0
	v_lshl_add_u64 v[2:3], v[0:1], 3, s[0:1]
	v_lshlrev_b32_e32 v0, 3, v4
	v_mov_b64_e32 v[4:5], 0
	s_delay_alu instid0(VALU_DEP_2)
	v_add_nc_u64_e32 v[0:1], v[2:3], v[0:1]
	v_mov_b64_e32 v[2:3], 2.0
	s_clause 0x7
	global_store_b64 v[0:1], v[4:5], off
	global_store_b64 v[0:1], v[6:7], off offset:512
	global_store_b64 v[0:1], v[2:3], off offset:1024
	;; [unrolled: 1-line block ×7, first 2 shown]
	s_wait_xcnt 0x5
	v_mov_b64_e32 v[2:3], 0x4020000000000000
	v_mov_b64_e32 v[4:5], 0x4022000000000000
	v_mov_b64_e32 v[6:7], 0x4024000000000000
	s_wait_xcnt 0x4
	v_mov_b64_e32 v[8:9], 0x4026000000000000
	s_wait_xcnt 0x3
	v_mov_b64_e32 v[10:11], 0x4028000000000000
	;; [unrolled: 2-line block ×5, first 2 shown]
	s_clause 0x7
	global_store_b64 v[0:1], v[2:3], off offset:4096
	global_store_b64 v[0:1], v[4:5], off offset:4608
	;; [unrolled: 1-line block ×8, first 2 shown]
	s_wait_xcnt 0x7
	v_mov_b64_e32 v[2:3], 0x4030000000000000
	s_wait_xcnt 0x6
	v_mov_b64_e32 v[4:5], 0x4031000000000000
	;; [unrolled: 2-line block ×8, first 2 shown]
	s_clause 0x7
	global_store_b64 v[0:1], v[2:3], off offset:8192
	global_store_b64 v[0:1], v[4:5], off offset:8704
	;; [unrolled: 1-line block ×8, first 2 shown]
	s_wait_xcnt 0x7
	v_mov_b64_e32 v[2:3], 0x4038000000000000
	s_wait_xcnt 0x6
	v_mov_b64_e32 v[4:5], 0x4039000000000000
	;; [unrolled: 2-line block ×8, first 2 shown]
	s_clause 0x7
	global_store_b64 v[0:1], v[2:3], off offset:12288
	global_store_b64 v[0:1], v[4:5], off offset:12800
	;; [unrolled: 1-line block ×8, first 2 shown]
	s_endpgm
	.section	.rodata,"a",@progbits
	.p2align	6, 0x0
	.amdhsa_kernel _Z17warp_store_kernelILj256ELj32ELj64ELN6hipcub18WarpStoreAlgorithmE1EdEvPT3_
		.amdhsa_group_segment_fixed_size 0
		.amdhsa_private_segment_fixed_size 0
		.amdhsa_kernarg_size 8
		.amdhsa_user_sgpr_count 2
		.amdhsa_user_sgpr_dispatch_ptr 0
		.amdhsa_user_sgpr_queue_ptr 0
		.amdhsa_user_sgpr_kernarg_segment_ptr 1
		.amdhsa_user_sgpr_dispatch_id 0
		.amdhsa_user_sgpr_kernarg_preload_length 0
		.amdhsa_user_sgpr_kernarg_preload_offset 0
		.amdhsa_user_sgpr_private_segment_size 0
		.amdhsa_wavefront_size32 1
		.amdhsa_uses_dynamic_stack 0
		.amdhsa_enable_private_segment 0
		.amdhsa_system_sgpr_workgroup_id_x 1
		.amdhsa_system_sgpr_workgroup_id_y 0
		.amdhsa_system_sgpr_workgroup_id_z 0
		.amdhsa_system_sgpr_workgroup_info 0
		.amdhsa_system_vgpr_workitem_id 0
		.amdhsa_next_free_vgpr 18
		.amdhsa_next_free_sgpr 5
		.amdhsa_named_barrier_count 0
		.amdhsa_reserve_vcc 0
		.amdhsa_float_round_mode_32 0
		.amdhsa_float_round_mode_16_64 0
		.amdhsa_float_denorm_mode_32 3
		.amdhsa_float_denorm_mode_16_64 3
		.amdhsa_fp16_overflow 0
		.amdhsa_memory_ordered 1
		.amdhsa_forward_progress 1
		.amdhsa_inst_pref_size 8
		.amdhsa_round_robin_scheduling 0
		.amdhsa_exception_fp_ieee_invalid_op 0
		.amdhsa_exception_fp_denorm_src 0
		.amdhsa_exception_fp_ieee_div_zero 0
		.amdhsa_exception_fp_ieee_overflow 0
		.amdhsa_exception_fp_ieee_underflow 0
		.amdhsa_exception_fp_ieee_inexact 0
		.amdhsa_exception_int_div_zero 0
	.end_amdhsa_kernel
	.section	.text._Z17warp_store_kernelILj256ELj32ELj64ELN6hipcub18WarpStoreAlgorithmE1EdEvPT3_,"axG",@progbits,_Z17warp_store_kernelILj256ELj32ELj64ELN6hipcub18WarpStoreAlgorithmE1EdEvPT3_,comdat
.Lfunc_end68:
	.size	_Z17warp_store_kernelILj256ELj32ELj64ELN6hipcub18WarpStoreAlgorithmE1EdEvPT3_, .Lfunc_end68-_Z17warp_store_kernelILj256ELj32ELj64ELN6hipcub18WarpStoreAlgorithmE1EdEvPT3_
                                        ; -- End function
	.set _Z17warp_store_kernelILj256ELj32ELj64ELN6hipcub18WarpStoreAlgorithmE1EdEvPT3_.num_vgpr, 18
	.set _Z17warp_store_kernelILj256ELj32ELj64ELN6hipcub18WarpStoreAlgorithmE1EdEvPT3_.num_agpr, 0
	.set _Z17warp_store_kernelILj256ELj32ELj64ELN6hipcub18WarpStoreAlgorithmE1EdEvPT3_.numbered_sgpr, 5
	.set _Z17warp_store_kernelILj256ELj32ELj64ELN6hipcub18WarpStoreAlgorithmE1EdEvPT3_.num_named_barrier, 0
	.set _Z17warp_store_kernelILj256ELj32ELj64ELN6hipcub18WarpStoreAlgorithmE1EdEvPT3_.private_seg_size, 0
	.set _Z17warp_store_kernelILj256ELj32ELj64ELN6hipcub18WarpStoreAlgorithmE1EdEvPT3_.uses_vcc, 0
	.set _Z17warp_store_kernelILj256ELj32ELj64ELN6hipcub18WarpStoreAlgorithmE1EdEvPT3_.uses_flat_scratch, 0
	.set _Z17warp_store_kernelILj256ELj32ELj64ELN6hipcub18WarpStoreAlgorithmE1EdEvPT3_.has_dyn_sized_stack, 0
	.set _Z17warp_store_kernelILj256ELj32ELj64ELN6hipcub18WarpStoreAlgorithmE1EdEvPT3_.has_recursion, 0
	.set _Z17warp_store_kernelILj256ELj32ELj64ELN6hipcub18WarpStoreAlgorithmE1EdEvPT3_.has_indirect_call, 0
	.section	.AMDGPU.csdata,"",@progbits
; Kernel info:
; codeLenInByte = 944
; TotalNumSgprs: 5
; NumVgprs: 18
; ScratchSize: 0
; MemoryBound: 1
; FloatMode: 240
; IeeeMode: 1
; LDSByteSize: 0 bytes/workgroup (compile time only)
; SGPRBlocks: 0
; VGPRBlocks: 1
; NumSGPRsForWavesPerEU: 5
; NumVGPRsForWavesPerEU: 18
; NamedBarCnt: 0
; Occupancy: 16
; WaveLimiterHint : 1
; COMPUTE_PGM_RSRC2:SCRATCH_EN: 0
; COMPUTE_PGM_RSRC2:USER_SGPR: 2
; COMPUTE_PGM_RSRC2:TRAP_HANDLER: 0
; COMPUTE_PGM_RSRC2:TGID_X_EN: 1
; COMPUTE_PGM_RSRC2:TGID_Y_EN: 0
; COMPUTE_PGM_RSRC2:TGID_Z_EN: 0
; COMPUTE_PGM_RSRC2:TIDIG_COMP_CNT: 0
	.section	.text._Z17warp_store_kernelILj256ELj32ELj64ELN6hipcub18WarpStoreAlgorithmE2EdEvPT3_,"axG",@progbits,_Z17warp_store_kernelILj256ELj32ELj64ELN6hipcub18WarpStoreAlgorithmE2EdEvPT3_,comdat
	.protected	_Z17warp_store_kernelILj256ELj32ELj64ELN6hipcub18WarpStoreAlgorithmE2EdEvPT3_ ; -- Begin function _Z17warp_store_kernelILj256ELj32ELj64ELN6hipcub18WarpStoreAlgorithmE2EdEvPT3_
	.globl	_Z17warp_store_kernelILj256ELj32ELj64ELN6hipcub18WarpStoreAlgorithmE2EdEvPT3_
	.p2align	8
	.type	_Z17warp_store_kernelILj256ELj32ELj64ELN6hipcub18WarpStoreAlgorithmE2EdEvPT3_,@function
_Z17warp_store_kernelILj256ELj32ELj64ELN6hipcub18WarpStoreAlgorithmE2EdEvPT3_: ; @_Z17warp_store_kernelILj256ELj32ELj64ELN6hipcub18WarpStoreAlgorithmE2EdEvPT3_
; %bb.0:
	s_load_b64 s[0:1], s[0:1], 0x0
	s_bfe_u32 s2, ttmp6, 0x4000c
	s_and_b32 s3, ttmp6, 15
	s_add_co_i32 s2, s2, 1
	s_getreg_b32 s4, hwreg(HW_REG_IB_STS2, 6, 4)
	s_mul_i32 s2, ttmp9, s2
	v_dual_mov_b32 v1, 0 :: v_dual_lshlrev_b32 v0, 5, v0
	s_add_co_i32 s3, s3, s2
	s_cmp_eq_u32 s4, 0
	v_mbcnt_lo_u32_b32 v2, -1, 0
	s_cselect_b32 s2, ttmp9, s3
	v_mov_b32_e32 v3, 0x3ff00000
	s_lshl_b32 s2, s2, 13
	v_mov_b32_e32 v5, 2.0
	v_and_or_b32 v0, 0x1800, v0, s2
	v_mov_b32_e32 v11, 0x40140000
	v_dual_mov_b32 v7, 0x40080000 :: v_dual_mov_b32 v4, v1
	v_dual_mov_b32 v9, 0x40100000 :: v_dual_mov_b32 v6, v1
	s_wait_kmcnt 0x0
	v_lshl_add_u64 v[12:13], v[0:1], 3, s[0:1]
	v_dual_lshlrev_b32 v0, 8, v2 :: v_dual_mov_b32 v2, v1
	v_dual_mov_b32 v8, v1 :: v_dual_mov_b32 v10, v1
	v_dual_mov_b32 v15, 0x401c0000 :: v_dual_mov_b32 v14, v1
	s_delay_alu instid0(VALU_DEP_3)
	v_add_nc_u64_e32 v[26:27], v[12:13], v[0:1]
	v_dual_mov_b32 v0, v1 :: v_dual_mov_b32 v13, 0x40180000
	v_mov_b32_e32 v12, v1
	s_clause 0x3
	global_store_b128 v[26:27], v[0:3], off
	global_store_b128 v[26:27], v[4:7], off offset:16
	global_store_b128 v[26:27], v[8:11], off offset:32
	;; [unrolled: 1-line block ×3, first 2 shown]
	s_wait_xcnt 0x3
	v_dual_mov_b32 v3, 0x40200000 :: v_dual_mov_b32 v16, v1
	s_wait_xcnt 0x2
	v_dual_mov_b32 v5, 0x40220000 :: v_dual_mov_b32 v18, v1
	v_dual_mov_b32 v7, 0x40240000 :: v_dual_mov_b32 v20, v1
	s_wait_xcnt 0x1
	v_dual_mov_b32 v9, 0x40260000 :: v_dual_mov_b32 v22, v1
	v_dual_mov_b32 v11, 0x40280000 :: v_dual_mov_b32 v24, v1
	s_wait_xcnt 0x0
	v_mov_b32_e32 v13, 0x402a0000
	v_mov_b32_e32 v15, 0x402c0000
	;; [unrolled: 1-line block ×7, first 2 shown]
	s_clause 0x5
	global_store_b128 v[26:27], v[2:5], off offset:64
	global_store_b128 v[26:27], v[6:9], off offset:80
	;; [unrolled: 1-line block ×6, first 2 shown]
	s_wait_xcnt 0x5
	v_mov_b32_e32 v3, 0x40340000
	v_mov_b32_e32 v5, 0x40350000
	s_wait_xcnt 0x4
	v_mov_b32_e32 v7, 0x40360000
	v_mov_b32_e32 v9, 0x40370000
	;; [unrolled: 3-line block ×6, first 2 shown]
	s_clause 0x5
	global_store_b128 v[26:27], v[2:5], off offset:160
	global_store_b128 v[26:27], v[6:9], off offset:176
	;; [unrolled: 1-line block ×6, first 2 shown]
	s_endpgm
	.section	.rodata,"a",@progbits
	.p2align	6, 0x0
	.amdhsa_kernel _Z17warp_store_kernelILj256ELj32ELj64ELN6hipcub18WarpStoreAlgorithmE2EdEvPT3_
		.amdhsa_group_segment_fixed_size 0
		.amdhsa_private_segment_fixed_size 0
		.amdhsa_kernarg_size 8
		.amdhsa_user_sgpr_count 2
		.amdhsa_user_sgpr_dispatch_ptr 0
		.amdhsa_user_sgpr_queue_ptr 0
		.amdhsa_user_sgpr_kernarg_segment_ptr 1
		.amdhsa_user_sgpr_dispatch_id 0
		.amdhsa_user_sgpr_kernarg_preload_length 0
		.amdhsa_user_sgpr_kernarg_preload_offset 0
		.amdhsa_user_sgpr_private_segment_size 0
		.amdhsa_wavefront_size32 1
		.amdhsa_uses_dynamic_stack 0
		.amdhsa_enable_private_segment 0
		.amdhsa_system_sgpr_workgroup_id_x 1
		.amdhsa_system_sgpr_workgroup_id_y 0
		.amdhsa_system_sgpr_workgroup_id_z 0
		.amdhsa_system_sgpr_workgroup_info 0
		.amdhsa_system_vgpr_workitem_id 0
		.amdhsa_next_free_vgpr 28
		.amdhsa_next_free_sgpr 5
		.amdhsa_named_barrier_count 0
		.amdhsa_reserve_vcc 0
		.amdhsa_float_round_mode_32 0
		.amdhsa_float_round_mode_16_64 0
		.amdhsa_float_denorm_mode_32 3
		.amdhsa_float_denorm_mode_16_64 3
		.amdhsa_fp16_overflow 0
		.amdhsa_memory_ordered 1
		.amdhsa_forward_progress 1
		.amdhsa_inst_pref_size 6
		.amdhsa_round_robin_scheduling 0
		.amdhsa_exception_fp_ieee_invalid_op 0
		.amdhsa_exception_fp_denorm_src 0
		.amdhsa_exception_fp_ieee_div_zero 0
		.amdhsa_exception_fp_ieee_overflow 0
		.amdhsa_exception_fp_ieee_underflow 0
		.amdhsa_exception_fp_ieee_inexact 0
		.amdhsa_exception_int_div_zero 0
	.end_amdhsa_kernel
	.section	.text._Z17warp_store_kernelILj256ELj32ELj64ELN6hipcub18WarpStoreAlgorithmE2EdEvPT3_,"axG",@progbits,_Z17warp_store_kernelILj256ELj32ELj64ELN6hipcub18WarpStoreAlgorithmE2EdEvPT3_,comdat
.Lfunc_end69:
	.size	_Z17warp_store_kernelILj256ELj32ELj64ELN6hipcub18WarpStoreAlgorithmE2EdEvPT3_, .Lfunc_end69-_Z17warp_store_kernelILj256ELj32ELj64ELN6hipcub18WarpStoreAlgorithmE2EdEvPT3_
                                        ; -- End function
	.set _Z17warp_store_kernelILj256ELj32ELj64ELN6hipcub18WarpStoreAlgorithmE2EdEvPT3_.num_vgpr, 28
	.set _Z17warp_store_kernelILj256ELj32ELj64ELN6hipcub18WarpStoreAlgorithmE2EdEvPT3_.num_agpr, 0
	.set _Z17warp_store_kernelILj256ELj32ELj64ELN6hipcub18WarpStoreAlgorithmE2EdEvPT3_.numbered_sgpr, 5
	.set _Z17warp_store_kernelILj256ELj32ELj64ELN6hipcub18WarpStoreAlgorithmE2EdEvPT3_.num_named_barrier, 0
	.set _Z17warp_store_kernelILj256ELj32ELj64ELN6hipcub18WarpStoreAlgorithmE2EdEvPT3_.private_seg_size, 0
	.set _Z17warp_store_kernelILj256ELj32ELj64ELN6hipcub18WarpStoreAlgorithmE2EdEvPT3_.uses_vcc, 0
	.set _Z17warp_store_kernelILj256ELj32ELj64ELN6hipcub18WarpStoreAlgorithmE2EdEvPT3_.uses_flat_scratch, 0
	.set _Z17warp_store_kernelILj256ELj32ELj64ELN6hipcub18WarpStoreAlgorithmE2EdEvPT3_.has_dyn_sized_stack, 0
	.set _Z17warp_store_kernelILj256ELj32ELj64ELN6hipcub18WarpStoreAlgorithmE2EdEvPT3_.has_recursion, 0
	.set _Z17warp_store_kernelILj256ELj32ELj64ELN6hipcub18WarpStoreAlgorithmE2EdEvPT3_.has_indirect_call, 0
	.section	.AMDGPU.csdata,"",@progbits
; Kernel info:
; codeLenInByte = 652
; TotalNumSgprs: 5
; NumVgprs: 28
; ScratchSize: 0
; MemoryBound: 1
; FloatMode: 240
; IeeeMode: 1
; LDSByteSize: 0 bytes/workgroup (compile time only)
; SGPRBlocks: 0
; VGPRBlocks: 1
; NumSGPRsForWavesPerEU: 5
; NumVGPRsForWavesPerEU: 28
; NamedBarCnt: 0
; Occupancy: 16
; WaveLimiterHint : 1
; COMPUTE_PGM_RSRC2:SCRATCH_EN: 0
; COMPUTE_PGM_RSRC2:USER_SGPR: 2
; COMPUTE_PGM_RSRC2:TRAP_HANDLER: 0
; COMPUTE_PGM_RSRC2:TGID_X_EN: 1
; COMPUTE_PGM_RSRC2:TGID_Y_EN: 0
; COMPUTE_PGM_RSRC2:TGID_Z_EN: 0
; COMPUTE_PGM_RSRC2:TIDIG_COMP_CNT: 0
	.section	.text._Z17warp_store_kernelILj256ELj64ELj64ELN6hipcub18WarpStoreAlgorithmE0EdEvPT3_,"axG",@progbits,_Z17warp_store_kernelILj256ELj64ELj64ELN6hipcub18WarpStoreAlgorithmE0EdEvPT3_,comdat
	.protected	_Z17warp_store_kernelILj256ELj64ELj64ELN6hipcub18WarpStoreAlgorithmE0EdEvPT3_ ; -- Begin function _Z17warp_store_kernelILj256ELj64ELj64ELN6hipcub18WarpStoreAlgorithmE0EdEvPT3_
	.globl	_Z17warp_store_kernelILj256ELj64ELj64ELN6hipcub18WarpStoreAlgorithmE0EdEvPT3_
	.p2align	8
	.type	_Z17warp_store_kernelILj256ELj64ELj64ELN6hipcub18WarpStoreAlgorithmE0EdEvPT3_,@function
_Z17warp_store_kernelILj256ELj64ELj64ELN6hipcub18WarpStoreAlgorithmE0EdEvPT3_: ; @_Z17warp_store_kernelILj256ELj64ELj64ELN6hipcub18WarpStoreAlgorithmE0EdEvPT3_
; %bb.0:
	s_load_b64 s[0:1], s[0:1], 0x0
	s_bfe_u32 s2, ttmp6, 0x4000c
	s_and_b32 s3, ttmp6, 15
	s_add_co_i32 s2, s2, 1
	s_getreg_b32 s4, hwreg(HW_REG_IB_STS2, 6, 4)
	s_mul_i32 s2, ttmp9, s2
	v_dual_mov_b32 v1, 0 :: v_dual_lshlrev_b32 v0, 6, v0
	s_add_co_i32 s3, s3, s2
	s_cmp_eq_u32 s4, 0
	v_mbcnt_lo_u32_b32 v2, -1, 0
	s_cselect_b32 s2, ttmp9, s3
	v_mov_b32_e32 v3, 0x3ff00000
	s_lshl_b32 s2, s2, 14
	v_mov_b32_e32 v5, 2.0
	v_and_or_b32 v0, 0x3000, v0, s2
	v_mov_b32_e32 v9, 0x40100000
	v_dual_mov_b32 v7, 0x40080000 :: v_dual_mov_b32 v4, v1
	v_dual_mov_b32 v11, 0x40140000 :: v_dual_mov_b32 v6, v1
	s_wait_kmcnt 0x0
	v_lshl_add_u64 v[16:17], v[0:1], 3, s[0:1]
	v_dual_lshlrev_b32 v0, 9, v2 :: v_dual_mov_b32 v2, v1
	v_dual_mov_b32 v13, 0x40180000 :: v_dual_mov_b32 v8, v1
	v_dual_mov_b32 v15, 0x401c0000 :: v_dual_mov_b32 v10, v1
	s_delay_alu instid0(VALU_DEP_3)
	v_add_nc_u64_e32 v[28:29], v[16:17], v[0:1]
	v_dual_mov_b32 v0, v1 :: v_dual_mov_b32 v12, v1
	v_mov_b32_e32 v14, v1
	s_clause 0x1
	global_store_b128 v[28:29], v[0:3], off
	global_store_b128 v[28:29], v[4:7], off offset:16
	s_wait_xcnt 0x1
	v_dual_mov_b32 v3, 0x40200000 :: v_dual_mov_b32 v16, v1
	s_wait_xcnt 0x0
	v_dual_mov_b32 v5, 0x40220000 :: v_dual_mov_b32 v18, v1
	v_dual_mov_b32 v17, 0x40240000 :: v_dual_mov_b32 v20, v1
	;; [unrolled: 1-line block ×5, first 2 shown]
	v_mov_b32_e32 v25, 0x402c0000
	v_mov_b32_e32 v27, 0x402e0000
	s_clause 0x5
	global_store_b128 v[28:29], v[8:11], off offset:32
	global_store_b128 v[28:29], v[12:15], off offset:48
	;; [unrolled: 1-line block ×6, first 2 shown]
	s_wait_xcnt 0x3
	v_mov_b32_e32 v3, 0x40300000
	v_mov_b32_e32 v5, 0x40310000
	v_mov_b32_e32 v7, 0x40320000
	v_mov_b32_e32 v9, 0x40330000
	v_mov_b32_e32 v11, 0x40340000
	v_mov_b32_e32 v13, 0x40350000
	v_mov_b32_e32 v15, 0x40360000
	s_wait_xcnt 0x2
	v_mov_b32_e32 v17, 0x40370000
	v_mov_b32_e32 v19, 0x40380000
	s_wait_xcnt 0x1
	v_mov_b32_e32 v21, 0x40390000
	v_mov_b32_e32 v23, 0x403a0000
	s_wait_xcnt 0x0
	v_mov_b32_e32 v25, 0x403b0000
	s_clause 0x5
	global_store_b128 v[28:29], v[2:5], off offset:128
	global_store_b128 v[28:29], v[6:9], off offset:144
	global_store_b128 v[28:29], v[10:13], off offset:160
	global_store_b128 v[28:29], v[14:17], off offset:176
	global_store_b128 v[28:29], v[18:21], off offset:192
	global_store_b128 v[28:29], v[22:25], off offset:208
	s_wait_xcnt 0x5
	v_mov_b32_e32 v3, 0x403c0000
	v_mov_b32_e32 v5, 0x403d0000
	s_wait_xcnt 0x4
	v_mov_b32_e32 v7, 0x403e0000
	v_mov_b32_e32 v9, 0x403f0000
	s_wait_xcnt 0x3
	v_mov_b32_e32 v11, 0x40400000
	v_mov_b32_e32 v13, 0x40408000
	s_wait_xcnt 0x2
	v_mov_b32_e32 v15, 0x40410000
	v_mov_b32_e32 v17, 0x40418000
	s_wait_xcnt 0x1
	v_mov_b32_e32 v19, 0x40420000
	v_mov_b32_e32 v21, 0x40428000
	s_wait_xcnt 0x0
	v_mov_b32_e32 v23, 0x40430000
	v_mov_b32_e32 v25, 0x40438000
	s_clause 0x5
	global_store_b128 v[28:29], v[2:5], off offset:224
	global_store_b128 v[28:29], v[6:9], off offset:240
	global_store_b128 v[28:29], v[10:13], off offset:256
	global_store_b128 v[28:29], v[14:17], off offset:272
	global_store_b128 v[28:29], v[18:21], off offset:288
	global_store_b128 v[28:29], v[22:25], off offset:304
	s_wait_xcnt 0x5
	v_mov_b32_e32 v3, 0x40440000
	v_mov_b32_e32 v5, 0x40448000
	s_wait_xcnt 0x4
	v_mov_b32_e32 v7, 0x40450000
	v_mov_b32_e32 v9, 0x40458000
	s_wait_xcnt 0x3
	v_mov_b32_e32 v11, 0x40460000
	v_mov_b32_e32 v13, 0x40468000
	s_wait_xcnt 0x2
	v_mov_b32_e32 v15, 0x40470000
	v_mov_b32_e32 v17, 0x40478000
	s_wait_xcnt 0x1
	v_mov_b32_e32 v19, 0x40480000
	v_mov_b32_e32 v21, 0x40488000
	s_wait_xcnt 0x0
	v_mov_b32_e32 v23, 0x40490000
	;; [unrolled: 25-line block ×3, first 2 shown]
	v_mov_b32_e32 v25, 0x404f8000
	s_clause 0x5
	global_store_b128 v[28:29], v[2:5], off offset:416
	global_store_b128 v[28:29], v[6:9], off offset:432
	;; [unrolled: 1-line block ×6, first 2 shown]
	s_endpgm
	.section	.rodata,"a",@progbits
	.p2align	6, 0x0
	.amdhsa_kernel _Z17warp_store_kernelILj256ELj64ELj64ELN6hipcub18WarpStoreAlgorithmE0EdEvPT3_
		.amdhsa_group_segment_fixed_size 0
		.amdhsa_private_segment_fixed_size 0
		.amdhsa_kernarg_size 8
		.amdhsa_user_sgpr_count 2
		.amdhsa_user_sgpr_dispatch_ptr 0
		.amdhsa_user_sgpr_queue_ptr 0
		.amdhsa_user_sgpr_kernarg_segment_ptr 1
		.amdhsa_user_sgpr_dispatch_id 0
		.amdhsa_user_sgpr_kernarg_preload_length 0
		.amdhsa_user_sgpr_kernarg_preload_offset 0
		.amdhsa_user_sgpr_private_segment_size 0
		.amdhsa_wavefront_size32 1
		.amdhsa_uses_dynamic_stack 0
		.amdhsa_enable_private_segment 0
		.amdhsa_system_sgpr_workgroup_id_x 1
		.amdhsa_system_sgpr_workgroup_id_y 0
		.amdhsa_system_sgpr_workgroup_id_z 0
		.amdhsa_system_sgpr_workgroup_info 0
		.amdhsa_system_vgpr_workitem_id 0
		.amdhsa_next_free_vgpr 30
		.amdhsa_next_free_sgpr 5
		.amdhsa_named_barrier_count 0
		.amdhsa_reserve_vcc 0
		.amdhsa_float_round_mode_32 0
		.amdhsa_float_round_mode_16_64 0
		.amdhsa_float_denorm_mode_32 3
		.amdhsa_float_denorm_mode_16_64 3
		.amdhsa_fp16_overflow 0
		.amdhsa_memory_ordered 1
		.amdhsa_forward_progress 1
		.amdhsa_inst_pref_size 10
		.amdhsa_round_robin_scheduling 0
		.amdhsa_exception_fp_ieee_invalid_op 0
		.amdhsa_exception_fp_denorm_src 0
		.amdhsa_exception_fp_ieee_div_zero 0
		.amdhsa_exception_fp_ieee_overflow 0
		.amdhsa_exception_fp_ieee_underflow 0
		.amdhsa_exception_fp_ieee_inexact 0
		.amdhsa_exception_int_div_zero 0
	.end_amdhsa_kernel
	.section	.text._Z17warp_store_kernelILj256ELj64ELj64ELN6hipcub18WarpStoreAlgorithmE0EdEvPT3_,"axG",@progbits,_Z17warp_store_kernelILj256ELj64ELj64ELN6hipcub18WarpStoreAlgorithmE0EdEvPT3_,comdat
.Lfunc_end70:
	.size	_Z17warp_store_kernelILj256ELj64ELj64ELN6hipcub18WarpStoreAlgorithmE0EdEvPT3_, .Lfunc_end70-_Z17warp_store_kernelILj256ELj64ELj64ELN6hipcub18WarpStoreAlgorithmE0EdEvPT3_
                                        ; -- End function
	.set _Z17warp_store_kernelILj256ELj64ELj64ELN6hipcub18WarpStoreAlgorithmE0EdEvPT3_.num_vgpr, 30
	.set _Z17warp_store_kernelILj256ELj64ELj64ELN6hipcub18WarpStoreAlgorithmE0EdEvPT3_.num_agpr, 0
	.set _Z17warp_store_kernelILj256ELj64ELj64ELN6hipcub18WarpStoreAlgorithmE0EdEvPT3_.numbered_sgpr, 5
	.set _Z17warp_store_kernelILj256ELj64ELj64ELN6hipcub18WarpStoreAlgorithmE0EdEvPT3_.num_named_barrier, 0
	.set _Z17warp_store_kernelILj256ELj64ELj64ELN6hipcub18WarpStoreAlgorithmE0EdEvPT3_.private_seg_size, 0
	.set _Z17warp_store_kernelILj256ELj64ELj64ELN6hipcub18WarpStoreAlgorithmE0EdEvPT3_.uses_vcc, 0
	.set _Z17warp_store_kernelILj256ELj64ELj64ELN6hipcub18WarpStoreAlgorithmE0EdEvPT3_.uses_flat_scratch, 0
	.set _Z17warp_store_kernelILj256ELj64ELj64ELN6hipcub18WarpStoreAlgorithmE0EdEvPT3_.has_dyn_sized_stack, 0
	.set _Z17warp_store_kernelILj256ELj64ELj64ELN6hipcub18WarpStoreAlgorithmE0EdEvPT3_.has_recursion, 0
	.set _Z17warp_store_kernelILj256ELj64ELj64ELN6hipcub18WarpStoreAlgorithmE0EdEvPT3_.has_indirect_call, 0
	.section	.AMDGPU.csdata,"",@progbits
; Kernel info:
; codeLenInByte = 1172
; TotalNumSgprs: 5
; NumVgprs: 30
; ScratchSize: 0
; MemoryBound: 1
; FloatMode: 240
; IeeeMode: 1
; LDSByteSize: 0 bytes/workgroup (compile time only)
; SGPRBlocks: 0
; VGPRBlocks: 1
; NumSGPRsForWavesPerEU: 5
; NumVGPRsForWavesPerEU: 30
; NamedBarCnt: 0
; Occupancy: 16
; WaveLimiterHint : 1
; COMPUTE_PGM_RSRC2:SCRATCH_EN: 0
; COMPUTE_PGM_RSRC2:USER_SGPR: 2
; COMPUTE_PGM_RSRC2:TRAP_HANDLER: 0
; COMPUTE_PGM_RSRC2:TGID_X_EN: 1
; COMPUTE_PGM_RSRC2:TGID_Y_EN: 0
; COMPUTE_PGM_RSRC2:TGID_Z_EN: 0
; COMPUTE_PGM_RSRC2:TIDIG_COMP_CNT: 0
	.section	.text._Z17warp_store_kernelILj256ELj64ELj64ELN6hipcub18WarpStoreAlgorithmE1EdEvPT3_,"axG",@progbits,_Z17warp_store_kernelILj256ELj64ELj64ELN6hipcub18WarpStoreAlgorithmE1EdEvPT3_,comdat
	.protected	_Z17warp_store_kernelILj256ELj64ELj64ELN6hipcub18WarpStoreAlgorithmE1EdEvPT3_ ; -- Begin function _Z17warp_store_kernelILj256ELj64ELj64ELN6hipcub18WarpStoreAlgorithmE1EdEvPT3_
	.globl	_Z17warp_store_kernelILj256ELj64ELj64ELN6hipcub18WarpStoreAlgorithmE1EdEvPT3_
	.p2align	8
	.type	_Z17warp_store_kernelILj256ELj64ELj64ELN6hipcub18WarpStoreAlgorithmE1EdEvPT3_,@function
_Z17warp_store_kernelILj256ELj64ELj64ELN6hipcub18WarpStoreAlgorithmE1EdEvPT3_: ; @_Z17warp_store_kernelILj256ELj64ELj64ELN6hipcub18WarpStoreAlgorithmE1EdEvPT3_
; %bb.0:
	s_load_b64 s[0:1], s[0:1], 0x0
	s_bfe_u32 s2, ttmp6, 0x4000c
	s_and_b32 s3, ttmp6, 15
	s_add_co_i32 s2, s2, 1
	s_getreg_b32 s4, hwreg(HW_REG_IB_STS2, 6, 4)
	s_mul_i32 s2, ttmp9, s2
	v_dual_mov_b32 v1, 0 :: v_dual_lshlrev_b32 v0, 6, v0
	s_add_co_i32 s3, s3, s2
	s_cmp_eq_u32 s4, 0
	v_mbcnt_lo_u32_b32 v4, -1, 0
	s_cselect_b32 s2, ttmp9, s3
	v_mov_b64_e32 v[6:7], 1.0
	s_lshl_b32 s2, s2, 14
	v_mov_b64_e32 v[8:9], 0x4008000000000000
	v_and_or_b32 v0, 0x3000, v0, s2
	v_mov_b64_e32 v[10:11], 4.0
	v_mov_b64_e32 v[12:13], 0x4014000000000000
	v_mov_b64_e32 v[14:15], 0x4018000000000000
	;; [unrolled: 1-line block ×3, first 2 shown]
	s_wait_kmcnt 0x0
	v_lshl_add_u64 v[2:3], v[0:1], 3, s[0:1]
	v_lshlrev_b32_e32 v0, 3, v4
	v_mov_b64_e32 v[4:5], 0
	s_delay_alu instid0(VALU_DEP_2)
	v_add_nc_u64_e32 v[0:1], v[2:3], v[0:1]
	v_mov_b64_e32 v[2:3], 2.0
	s_clause 0x7
	global_store_b64 v[0:1], v[4:5], off
	global_store_b64 v[0:1], v[6:7], off offset:512
	global_store_b64 v[0:1], v[2:3], off offset:1024
	;; [unrolled: 1-line block ×7, first 2 shown]
	s_wait_xcnt 0x5
	v_mov_b64_e32 v[2:3], 0x4020000000000000
	v_mov_b64_e32 v[4:5], 0x4022000000000000
	;; [unrolled: 1-line block ×3, first 2 shown]
	s_wait_xcnt 0x4
	v_mov_b64_e32 v[8:9], 0x4026000000000000
	s_wait_xcnt 0x3
	v_mov_b64_e32 v[10:11], 0x4028000000000000
	s_wait_xcnt 0x2
	v_mov_b64_e32 v[12:13], 0x402a000000000000
	s_wait_xcnt 0x1
	v_mov_b64_e32 v[14:15], 0x402c000000000000
	s_wait_xcnt 0x0
	v_mov_b64_e32 v[16:17], 0x402e000000000000
	s_clause 0x7
	global_store_b64 v[0:1], v[2:3], off offset:4096
	global_store_b64 v[0:1], v[4:5], off offset:4608
	global_store_b64 v[0:1], v[6:7], off offset:5120
	global_store_b64 v[0:1], v[8:9], off offset:5632
	global_store_b64 v[0:1], v[10:11], off offset:6144
	global_store_b64 v[0:1], v[12:13], off offset:6656
	global_store_b64 v[0:1], v[14:15], off offset:7168
	global_store_b64 v[0:1], v[16:17], off offset:7680
	s_wait_xcnt 0x7
	v_mov_b64_e32 v[2:3], 0x4030000000000000
	s_wait_xcnt 0x6
	v_mov_b64_e32 v[4:5], 0x4031000000000000
	s_wait_xcnt 0x5
	v_mov_b64_e32 v[6:7], 0x4032000000000000
	s_wait_xcnt 0x4
	v_mov_b64_e32 v[8:9], 0x4033000000000000
	s_wait_xcnt 0x3
	v_mov_b64_e32 v[10:11], 0x4034000000000000
	s_wait_xcnt 0x2
	v_mov_b64_e32 v[12:13], 0x4035000000000000
	s_wait_xcnt 0x1
	v_mov_b64_e32 v[14:15], 0x4036000000000000
	s_wait_xcnt 0x0
	v_mov_b64_e32 v[16:17], 0x4037000000000000
	s_clause 0x7
	global_store_b64 v[0:1], v[2:3], off offset:8192
	global_store_b64 v[0:1], v[4:5], off offset:8704
	global_store_b64 v[0:1], v[6:7], off offset:9216
	global_store_b64 v[0:1], v[8:9], off offset:9728
	global_store_b64 v[0:1], v[10:11], off offset:10240
	global_store_b64 v[0:1], v[12:13], off offset:10752
	global_store_b64 v[0:1], v[14:15], off offset:11264
	global_store_b64 v[0:1], v[16:17], off offset:11776
	s_wait_xcnt 0x7
	v_mov_b64_e32 v[2:3], 0x4038000000000000
	s_wait_xcnt 0x6
	v_mov_b64_e32 v[4:5], 0x4039000000000000
	s_wait_xcnt 0x5
	v_mov_b64_e32 v[6:7], 0x403a000000000000
	;; [unrolled: 25-line block ×6, first 2 shown]
	s_wait_xcnt 0x4
	v_mov_b64_e32 v[8:9], 0x404d800000000000
	s_wait_xcnt 0x3
	v_mov_b64_e32 v[10:11], 0x404e000000000000
	;; [unrolled: 2-line block ×5, first 2 shown]
	s_clause 0x7
	global_store_b64 v[0:1], v[2:3], off offset:28672
	global_store_b64 v[0:1], v[4:5], off offset:29184
	;; [unrolled: 1-line block ×8, first 2 shown]
	s_endpgm
	.section	.rodata,"a",@progbits
	.p2align	6, 0x0
	.amdhsa_kernel _Z17warp_store_kernelILj256ELj64ELj64ELN6hipcub18WarpStoreAlgorithmE1EdEvPT3_
		.amdhsa_group_segment_fixed_size 0
		.amdhsa_private_segment_fixed_size 0
		.amdhsa_kernarg_size 8
		.amdhsa_user_sgpr_count 2
		.amdhsa_user_sgpr_dispatch_ptr 0
		.amdhsa_user_sgpr_queue_ptr 0
		.amdhsa_user_sgpr_kernarg_segment_ptr 1
		.amdhsa_user_sgpr_dispatch_id 0
		.amdhsa_user_sgpr_kernarg_preload_length 0
		.amdhsa_user_sgpr_kernarg_preload_offset 0
		.amdhsa_user_sgpr_private_segment_size 0
		.amdhsa_wavefront_size32 1
		.amdhsa_uses_dynamic_stack 0
		.amdhsa_enable_private_segment 0
		.amdhsa_system_sgpr_workgroup_id_x 1
		.amdhsa_system_sgpr_workgroup_id_y 0
		.amdhsa_system_sgpr_workgroup_id_z 0
		.amdhsa_system_sgpr_workgroup_info 0
		.amdhsa_system_vgpr_workitem_id 0
		.amdhsa_next_free_vgpr 18
		.amdhsa_next_free_sgpr 5
		.amdhsa_named_barrier_count 0
		.amdhsa_reserve_vcc 0
		.amdhsa_float_round_mode_32 0
		.amdhsa_float_round_mode_16_64 0
		.amdhsa_float_denorm_mode_32 3
		.amdhsa_float_denorm_mode_16_64 3
		.amdhsa_fp16_overflow 0
		.amdhsa_memory_ordered 1
		.amdhsa_forward_progress 1
		.amdhsa_inst_pref_size 15
		.amdhsa_round_robin_scheduling 0
		.amdhsa_exception_fp_ieee_invalid_op 0
		.amdhsa_exception_fp_denorm_src 0
		.amdhsa_exception_fp_ieee_div_zero 0
		.amdhsa_exception_fp_ieee_overflow 0
		.amdhsa_exception_fp_ieee_underflow 0
		.amdhsa_exception_fp_ieee_inexact 0
		.amdhsa_exception_int_div_zero 0
	.end_amdhsa_kernel
	.section	.text._Z17warp_store_kernelILj256ELj64ELj64ELN6hipcub18WarpStoreAlgorithmE1EdEvPT3_,"axG",@progbits,_Z17warp_store_kernelILj256ELj64ELj64ELN6hipcub18WarpStoreAlgorithmE1EdEvPT3_,comdat
.Lfunc_end71:
	.size	_Z17warp_store_kernelILj256ELj64ELj64ELN6hipcub18WarpStoreAlgorithmE1EdEvPT3_, .Lfunc_end71-_Z17warp_store_kernelILj256ELj64ELj64ELN6hipcub18WarpStoreAlgorithmE1EdEvPT3_
                                        ; -- End function
	.set _Z17warp_store_kernelILj256ELj64ELj64ELN6hipcub18WarpStoreAlgorithmE1EdEvPT3_.num_vgpr, 18
	.set _Z17warp_store_kernelILj256ELj64ELj64ELN6hipcub18WarpStoreAlgorithmE1EdEvPT3_.num_agpr, 0
	.set _Z17warp_store_kernelILj256ELj64ELj64ELN6hipcub18WarpStoreAlgorithmE1EdEvPT3_.numbered_sgpr, 5
	.set _Z17warp_store_kernelILj256ELj64ELj64ELN6hipcub18WarpStoreAlgorithmE1EdEvPT3_.num_named_barrier, 0
	.set _Z17warp_store_kernelILj256ELj64ELj64ELN6hipcub18WarpStoreAlgorithmE1EdEvPT3_.private_seg_size, 0
	.set _Z17warp_store_kernelILj256ELj64ELj64ELN6hipcub18WarpStoreAlgorithmE1EdEvPT3_.uses_vcc, 0
	.set _Z17warp_store_kernelILj256ELj64ELj64ELN6hipcub18WarpStoreAlgorithmE1EdEvPT3_.uses_flat_scratch, 0
	.set _Z17warp_store_kernelILj256ELj64ELj64ELN6hipcub18WarpStoreAlgorithmE1EdEvPT3_.has_dyn_sized_stack, 0
	.set _Z17warp_store_kernelILj256ELj64ELj64ELN6hipcub18WarpStoreAlgorithmE1EdEvPT3_.has_recursion, 0
	.set _Z17warp_store_kernelILj256ELj64ELj64ELN6hipcub18WarpStoreAlgorithmE1EdEvPT3_.has_indirect_call, 0
	.section	.AMDGPU.csdata,"",@progbits
; Kernel info:
; codeLenInByte = 1856
; TotalNumSgprs: 5
; NumVgprs: 18
; ScratchSize: 0
; MemoryBound: 1
; FloatMode: 240
; IeeeMode: 1
; LDSByteSize: 0 bytes/workgroup (compile time only)
; SGPRBlocks: 0
; VGPRBlocks: 1
; NumSGPRsForWavesPerEU: 5
; NumVGPRsForWavesPerEU: 18
; NamedBarCnt: 0
; Occupancy: 16
; WaveLimiterHint : 1
; COMPUTE_PGM_RSRC2:SCRATCH_EN: 0
; COMPUTE_PGM_RSRC2:USER_SGPR: 2
; COMPUTE_PGM_RSRC2:TRAP_HANDLER: 0
; COMPUTE_PGM_RSRC2:TGID_X_EN: 1
; COMPUTE_PGM_RSRC2:TGID_Y_EN: 0
; COMPUTE_PGM_RSRC2:TGID_Z_EN: 0
; COMPUTE_PGM_RSRC2:TIDIG_COMP_CNT: 0
	.section	.text._Z17warp_store_kernelILj256ELj64ELj64ELN6hipcub18WarpStoreAlgorithmE2EdEvPT3_,"axG",@progbits,_Z17warp_store_kernelILj256ELj64ELj64ELN6hipcub18WarpStoreAlgorithmE2EdEvPT3_,comdat
	.protected	_Z17warp_store_kernelILj256ELj64ELj64ELN6hipcub18WarpStoreAlgorithmE2EdEvPT3_ ; -- Begin function _Z17warp_store_kernelILj256ELj64ELj64ELN6hipcub18WarpStoreAlgorithmE2EdEvPT3_
	.globl	_Z17warp_store_kernelILj256ELj64ELj64ELN6hipcub18WarpStoreAlgorithmE2EdEvPT3_
	.p2align	8
	.type	_Z17warp_store_kernelILj256ELj64ELj64ELN6hipcub18WarpStoreAlgorithmE2EdEvPT3_,@function
_Z17warp_store_kernelILj256ELj64ELj64ELN6hipcub18WarpStoreAlgorithmE2EdEvPT3_: ; @_Z17warp_store_kernelILj256ELj64ELj64ELN6hipcub18WarpStoreAlgorithmE2EdEvPT3_
; %bb.0:
	s_load_b64 s[0:1], s[0:1], 0x0
	s_bfe_u32 s2, ttmp6, 0x4000c
	s_and_b32 s3, ttmp6, 15
	s_add_co_i32 s2, s2, 1
	s_getreg_b32 s4, hwreg(HW_REG_IB_STS2, 6, 4)
	s_mul_i32 s2, ttmp9, s2
	v_dual_mov_b32 v1, 0 :: v_dual_lshlrev_b32 v0, 6, v0
	s_add_co_i32 s3, s3, s2
	s_cmp_eq_u32 s4, 0
	v_mbcnt_lo_u32_b32 v2, -1, 0
	s_cselect_b32 s2, ttmp9, s3
	v_mov_b32_e32 v3, 0x3ff00000
	s_lshl_b32 s2, s2, 14
	v_mov_b32_e32 v5, 2.0
	v_and_or_b32 v0, 0x3000, v0, s2
	v_mov_b32_e32 v9, 0x40100000
	v_dual_mov_b32 v7, 0x40080000 :: v_dual_mov_b32 v4, v1
	v_dual_mov_b32 v11, 0x40140000 :: v_dual_mov_b32 v6, v1
	s_wait_kmcnt 0x0
	v_lshl_add_u64 v[16:17], v[0:1], 3, s[0:1]
	v_dual_lshlrev_b32 v0, 9, v2 :: v_dual_mov_b32 v2, v1
	v_dual_mov_b32 v13, 0x40180000 :: v_dual_mov_b32 v8, v1
	v_dual_mov_b32 v15, 0x401c0000 :: v_dual_mov_b32 v10, v1
	s_delay_alu instid0(VALU_DEP_3)
	v_add_nc_u64_e32 v[28:29], v[16:17], v[0:1]
	v_dual_mov_b32 v0, v1 :: v_dual_mov_b32 v12, v1
	v_mov_b32_e32 v14, v1
	s_clause 0x1
	global_store_b128 v[28:29], v[0:3], off
	global_store_b128 v[28:29], v[4:7], off offset:16
	s_wait_xcnt 0x1
	v_dual_mov_b32 v3, 0x40200000 :: v_dual_mov_b32 v16, v1
	s_wait_xcnt 0x0
	v_dual_mov_b32 v5, 0x40220000 :: v_dual_mov_b32 v18, v1
	v_dual_mov_b32 v17, 0x40240000 :: v_dual_mov_b32 v20, v1
	;; [unrolled: 1-line block ×5, first 2 shown]
	v_mov_b32_e32 v25, 0x402c0000
	v_mov_b32_e32 v27, 0x402e0000
	s_clause 0x5
	global_store_b128 v[28:29], v[8:11], off offset:32
	global_store_b128 v[28:29], v[12:15], off offset:48
	;; [unrolled: 1-line block ×6, first 2 shown]
	s_wait_xcnt 0x3
	v_mov_b32_e32 v3, 0x40300000
	v_mov_b32_e32 v5, 0x40310000
	;; [unrolled: 1-line block ×7, first 2 shown]
	s_wait_xcnt 0x2
	v_mov_b32_e32 v17, 0x40370000
	v_mov_b32_e32 v19, 0x40380000
	s_wait_xcnt 0x1
	v_mov_b32_e32 v21, 0x40390000
	v_mov_b32_e32 v23, 0x403a0000
	s_wait_xcnt 0x0
	v_mov_b32_e32 v25, 0x403b0000
	s_clause 0x5
	global_store_b128 v[28:29], v[2:5], off offset:128
	global_store_b128 v[28:29], v[6:9], off offset:144
	global_store_b128 v[28:29], v[10:13], off offset:160
	global_store_b128 v[28:29], v[14:17], off offset:176
	global_store_b128 v[28:29], v[18:21], off offset:192
	global_store_b128 v[28:29], v[22:25], off offset:208
	s_wait_xcnt 0x5
	v_mov_b32_e32 v3, 0x403c0000
	v_mov_b32_e32 v5, 0x403d0000
	s_wait_xcnt 0x4
	v_mov_b32_e32 v7, 0x403e0000
	v_mov_b32_e32 v9, 0x403f0000
	s_wait_xcnt 0x3
	v_mov_b32_e32 v11, 0x40400000
	v_mov_b32_e32 v13, 0x40408000
	s_wait_xcnt 0x2
	v_mov_b32_e32 v15, 0x40410000
	v_mov_b32_e32 v17, 0x40418000
	s_wait_xcnt 0x1
	v_mov_b32_e32 v19, 0x40420000
	v_mov_b32_e32 v21, 0x40428000
	s_wait_xcnt 0x0
	v_mov_b32_e32 v23, 0x40430000
	v_mov_b32_e32 v25, 0x40438000
	s_clause 0x5
	global_store_b128 v[28:29], v[2:5], off offset:224
	global_store_b128 v[28:29], v[6:9], off offset:240
	global_store_b128 v[28:29], v[10:13], off offset:256
	global_store_b128 v[28:29], v[14:17], off offset:272
	global_store_b128 v[28:29], v[18:21], off offset:288
	global_store_b128 v[28:29], v[22:25], off offset:304
	s_wait_xcnt 0x5
	v_mov_b32_e32 v3, 0x40440000
	v_mov_b32_e32 v5, 0x40448000
	s_wait_xcnt 0x4
	v_mov_b32_e32 v7, 0x40450000
	v_mov_b32_e32 v9, 0x40458000
	s_wait_xcnt 0x3
	v_mov_b32_e32 v11, 0x40460000
	v_mov_b32_e32 v13, 0x40468000
	s_wait_xcnt 0x2
	v_mov_b32_e32 v15, 0x40470000
	v_mov_b32_e32 v17, 0x40478000
	s_wait_xcnt 0x1
	v_mov_b32_e32 v19, 0x40480000
	v_mov_b32_e32 v21, 0x40488000
	s_wait_xcnt 0x0
	v_mov_b32_e32 v23, 0x40490000
	;; [unrolled: 25-line block ×3, first 2 shown]
	v_mov_b32_e32 v25, 0x404f8000
	s_clause 0x5
	global_store_b128 v[28:29], v[2:5], off offset:416
	global_store_b128 v[28:29], v[6:9], off offset:432
	global_store_b128 v[28:29], v[10:13], off offset:448
	global_store_b128 v[28:29], v[14:17], off offset:464
	global_store_b128 v[28:29], v[18:21], off offset:480
	global_store_b128 v[28:29], v[22:25], off offset:496
	s_endpgm
	.section	.rodata,"a",@progbits
	.p2align	6, 0x0
	.amdhsa_kernel _Z17warp_store_kernelILj256ELj64ELj64ELN6hipcub18WarpStoreAlgorithmE2EdEvPT3_
		.amdhsa_group_segment_fixed_size 0
		.amdhsa_private_segment_fixed_size 0
		.amdhsa_kernarg_size 8
		.amdhsa_user_sgpr_count 2
		.amdhsa_user_sgpr_dispatch_ptr 0
		.amdhsa_user_sgpr_queue_ptr 0
		.amdhsa_user_sgpr_kernarg_segment_ptr 1
		.amdhsa_user_sgpr_dispatch_id 0
		.amdhsa_user_sgpr_kernarg_preload_length 0
		.amdhsa_user_sgpr_kernarg_preload_offset 0
		.amdhsa_user_sgpr_private_segment_size 0
		.amdhsa_wavefront_size32 1
		.amdhsa_uses_dynamic_stack 0
		.amdhsa_enable_private_segment 0
		.amdhsa_system_sgpr_workgroup_id_x 1
		.amdhsa_system_sgpr_workgroup_id_y 0
		.amdhsa_system_sgpr_workgroup_id_z 0
		.amdhsa_system_sgpr_workgroup_info 0
		.amdhsa_system_vgpr_workitem_id 0
		.amdhsa_next_free_vgpr 30
		.amdhsa_next_free_sgpr 5
		.amdhsa_named_barrier_count 0
		.amdhsa_reserve_vcc 0
		.amdhsa_float_round_mode_32 0
		.amdhsa_float_round_mode_16_64 0
		.amdhsa_float_denorm_mode_32 3
		.amdhsa_float_denorm_mode_16_64 3
		.amdhsa_fp16_overflow 0
		.amdhsa_memory_ordered 1
		.amdhsa_forward_progress 1
		.amdhsa_inst_pref_size 10
		.amdhsa_round_robin_scheduling 0
		.amdhsa_exception_fp_ieee_invalid_op 0
		.amdhsa_exception_fp_denorm_src 0
		.amdhsa_exception_fp_ieee_div_zero 0
		.amdhsa_exception_fp_ieee_overflow 0
		.amdhsa_exception_fp_ieee_underflow 0
		.amdhsa_exception_fp_ieee_inexact 0
		.amdhsa_exception_int_div_zero 0
	.end_amdhsa_kernel
	.section	.text._Z17warp_store_kernelILj256ELj64ELj64ELN6hipcub18WarpStoreAlgorithmE2EdEvPT3_,"axG",@progbits,_Z17warp_store_kernelILj256ELj64ELj64ELN6hipcub18WarpStoreAlgorithmE2EdEvPT3_,comdat
.Lfunc_end72:
	.size	_Z17warp_store_kernelILj256ELj64ELj64ELN6hipcub18WarpStoreAlgorithmE2EdEvPT3_, .Lfunc_end72-_Z17warp_store_kernelILj256ELj64ELj64ELN6hipcub18WarpStoreAlgorithmE2EdEvPT3_
                                        ; -- End function
	.set _Z17warp_store_kernelILj256ELj64ELj64ELN6hipcub18WarpStoreAlgorithmE2EdEvPT3_.num_vgpr, 30
	.set _Z17warp_store_kernelILj256ELj64ELj64ELN6hipcub18WarpStoreAlgorithmE2EdEvPT3_.num_agpr, 0
	.set _Z17warp_store_kernelILj256ELj64ELj64ELN6hipcub18WarpStoreAlgorithmE2EdEvPT3_.numbered_sgpr, 5
	.set _Z17warp_store_kernelILj256ELj64ELj64ELN6hipcub18WarpStoreAlgorithmE2EdEvPT3_.num_named_barrier, 0
	.set _Z17warp_store_kernelILj256ELj64ELj64ELN6hipcub18WarpStoreAlgorithmE2EdEvPT3_.private_seg_size, 0
	.set _Z17warp_store_kernelILj256ELj64ELj64ELN6hipcub18WarpStoreAlgorithmE2EdEvPT3_.uses_vcc, 0
	.set _Z17warp_store_kernelILj256ELj64ELj64ELN6hipcub18WarpStoreAlgorithmE2EdEvPT3_.uses_flat_scratch, 0
	.set _Z17warp_store_kernelILj256ELj64ELj64ELN6hipcub18WarpStoreAlgorithmE2EdEvPT3_.has_dyn_sized_stack, 0
	.set _Z17warp_store_kernelILj256ELj64ELj64ELN6hipcub18WarpStoreAlgorithmE2EdEvPT3_.has_recursion, 0
	.set _Z17warp_store_kernelILj256ELj64ELj64ELN6hipcub18WarpStoreAlgorithmE2EdEvPT3_.has_indirect_call, 0
	.section	.AMDGPU.csdata,"",@progbits
; Kernel info:
; codeLenInByte = 1172
; TotalNumSgprs: 5
; NumVgprs: 30
; ScratchSize: 0
; MemoryBound: 1
; FloatMode: 240
; IeeeMode: 1
; LDSByteSize: 0 bytes/workgroup (compile time only)
; SGPRBlocks: 0
; VGPRBlocks: 1
; NumSGPRsForWavesPerEU: 5
; NumVGPRsForWavesPerEU: 30
; NamedBarCnt: 0
; Occupancy: 16
; WaveLimiterHint : 1
; COMPUTE_PGM_RSRC2:SCRATCH_EN: 0
; COMPUTE_PGM_RSRC2:USER_SGPR: 2
; COMPUTE_PGM_RSRC2:TRAP_HANDLER: 0
; COMPUTE_PGM_RSRC2:TGID_X_EN: 1
; COMPUTE_PGM_RSRC2:TGID_Y_EN: 0
; COMPUTE_PGM_RSRC2:TGID_Z_EN: 0
; COMPUTE_PGM_RSRC2:TIDIG_COMP_CNT: 0
	.section	.AMDGPU.gpr_maximums,"",@progbits
	.set amdgpu.max_num_vgpr, 0
	.set amdgpu.max_num_agpr, 0
	.set amdgpu.max_num_sgpr, 0
	.section	.AMDGPU.csdata,"",@progbits
	.type	__hip_cuid_cb35dce4b24cb44d,@object ; @__hip_cuid_cb35dce4b24cb44d
	.section	.bss,"aw",@nobits
	.globl	__hip_cuid_cb35dce4b24cb44d
__hip_cuid_cb35dce4b24cb44d:
	.byte	0                               ; 0x0
	.size	__hip_cuid_cb35dce4b24cb44d, 1

	.ident	"AMD clang version 22.0.0git (https://github.com/RadeonOpenCompute/llvm-project roc-7.2.4 26084 f58b06dce1f9c15707c5f808fd002e18c2accf7e)"
	.section	".note.GNU-stack","",@progbits
	.addrsig
	.addrsig_sym __hip_cuid_cb35dce4b24cb44d
	.amdgpu_metadata
---
amdhsa.kernels:
  - .args:
      - .address_space:  global
        .offset:         0
        .size:           8
        .value_kind:     global_buffer
    .group_segment_fixed_size: 0
    .kernarg_segment_align: 8
    .kernarg_segment_size: 8
    .language:       OpenCL C
    .language_version:
      - 2
      - 0
    .max_flat_workgroup_size: 256
    .name:           _Z17warp_store_kernelILj256ELj4ELj32ELN6hipcub18WarpStoreAlgorithmE0EiEvPT3_
    .private_segment_fixed_size: 0
    .sgpr_count:     5
    .sgpr_spill_count: 0
    .symbol:         _Z17warp_store_kernelILj256ELj4ELj32ELN6hipcub18WarpStoreAlgorithmE0EiEvPT3_.kd
    .uniform_work_group_size: 1
    .uses_dynamic_stack: false
    .vgpr_count:     8
    .vgpr_spill_count: 0
    .wavefront_size: 32
  - .args:
      - .address_space:  global
        .offset:         0
        .size:           8
        .value_kind:     global_buffer
    .group_segment_fixed_size: 0
    .kernarg_segment_align: 8
    .kernarg_segment_size: 8
    .language:       OpenCL C
    .language_version:
      - 2
      - 0
    .max_flat_workgroup_size: 256
    .name:           _Z17warp_store_kernelILj256ELj4ELj32ELN6hipcub18WarpStoreAlgorithmE1EiEvPT3_
    .private_segment_fixed_size: 0
    .sgpr_count:     5
    .sgpr_spill_count: 0
    .symbol:         _Z17warp_store_kernelILj256ELj4ELj32ELN6hipcub18WarpStoreAlgorithmE1EiEvPT3_.kd
    .uniform_work_group_size: 1
    .uses_dynamic_stack: false
    .vgpr_count:     6
    .vgpr_spill_count: 0
    .wavefront_size: 32
  - .args:
      - .address_space:  global
        .offset:         0
        .size:           8
        .value_kind:     global_buffer
    .group_segment_fixed_size: 0
    .kernarg_segment_align: 8
    .kernarg_segment_size: 8
    .language:       OpenCL C
    .language_version:
      - 2
      - 0
    .max_flat_workgroup_size: 256
    .name:           _Z17warp_store_kernelILj256ELj4ELj32ELN6hipcub18WarpStoreAlgorithmE2EiEvPT3_
    .private_segment_fixed_size: 0
    .sgpr_count:     5
    .sgpr_spill_count: 0
    .symbol:         _Z17warp_store_kernelILj256ELj4ELj32ELN6hipcub18WarpStoreAlgorithmE2EiEvPT3_.kd
    .uniform_work_group_size: 1
    .uses_dynamic_stack: false
    .vgpr_count:     8
    .vgpr_spill_count: 0
    .wavefront_size: 32
  - .args:
      - .address_space:  global
        .offset:         0
        .size:           8
        .value_kind:     global_buffer
    .group_segment_fixed_size: 4096
    .kernarg_segment_align: 8
    .kernarg_segment_size: 8
    .language:       OpenCL C
    .language_version:
      - 2
      - 0
    .max_flat_workgroup_size: 256
    .name:           _Z17warp_store_kernelILj256ELj4ELj32ELN6hipcub18WarpStoreAlgorithmE3EiEvPT3_
    .private_segment_fixed_size: 0
    .sgpr_count:     5
    .sgpr_spill_count: 0
    .symbol:         _Z17warp_store_kernelILj256ELj4ELj32ELN6hipcub18WarpStoreAlgorithmE3EiEvPT3_.kd
    .uniform_work_group_size: 1
    .uses_dynamic_stack: false
    .vgpr_count:     9
    .vgpr_spill_count: 0
    .wavefront_size: 32
  - .args:
      - .address_space:  global
        .offset:         0
        .size:           8
        .value_kind:     global_buffer
    .group_segment_fixed_size: 0
    .kernarg_segment_align: 8
    .kernarg_segment_size: 8
    .language:       OpenCL C
    .language_version:
      - 2
      - 0
    .max_flat_workgroup_size: 256
    .name:           _Z17warp_store_kernelILj256ELj8ELj32ELN6hipcub18WarpStoreAlgorithmE0EiEvPT3_
    .private_segment_fixed_size: 0
    .sgpr_count:     5
    .sgpr_spill_count: 0
    .symbol:         _Z17warp_store_kernelILj256ELj8ELj32ELN6hipcub18WarpStoreAlgorithmE0EiEvPT3_.kd
    .uniform_work_group_size: 1
    .uses_dynamic_stack: false
    .vgpr_count:     10
    .vgpr_spill_count: 0
    .wavefront_size: 32
  - .args:
      - .address_space:  global
        .offset:         0
        .size:           8
        .value_kind:     global_buffer
    .group_segment_fixed_size: 0
    .kernarg_segment_align: 8
    .kernarg_segment_size: 8
    .language:       OpenCL C
    .language_version:
      - 2
      - 0
    .max_flat_workgroup_size: 256
    .name:           _Z17warp_store_kernelILj256ELj8ELj32ELN6hipcub18WarpStoreAlgorithmE1EiEvPT3_
    .private_segment_fixed_size: 0
    .sgpr_count:     5
    .sgpr_spill_count: 0
    .symbol:         _Z17warp_store_kernelILj256ELj8ELj32ELN6hipcub18WarpStoreAlgorithmE1EiEvPT3_.kd
    .uniform_work_group_size: 1
    .uses_dynamic_stack: false
    .vgpr_count:     10
    .vgpr_spill_count: 0
    .wavefront_size: 32
  - .args:
      - .address_space:  global
        .offset:         0
        .size:           8
        .value_kind:     global_buffer
    .group_segment_fixed_size: 0
    .kernarg_segment_align: 8
    .kernarg_segment_size: 8
    .language:       OpenCL C
    .language_version:
      - 2
      - 0
    .max_flat_workgroup_size: 256
    .name:           _Z17warp_store_kernelILj256ELj8ELj32ELN6hipcub18WarpStoreAlgorithmE2EiEvPT3_
    .private_segment_fixed_size: 0
    .sgpr_count:     5
    .sgpr_spill_count: 0
    .symbol:         _Z17warp_store_kernelILj256ELj8ELj32ELN6hipcub18WarpStoreAlgorithmE2EiEvPT3_.kd
    .uniform_work_group_size: 1
    .uses_dynamic_stack: false
    .vgpr_count:     10
    .vgpr_spill_count: 0
    .wavefront_size: 32
  - .args:
      - .address_space:  global
        .offset:         0
        .size:           8
        .value_kind:     global_buffer
    .group_segment_fixed_size: 8192
    .kernarg_segment_align: 8
    .kernarg_segment_size: 8
    .language:       OpenCL C
    .language_version:
      - 2
      - 0
    .max_flat_workgroup_size: 256
    .name:           _Z17warp_store_kernelILj256ELj8ELj32ELN6hipcub18WarpStoreAlgorithmE3EiEvPT3_
    .private_segment_fixed_size: 0
    .sgpr_count:     4
    .sgpr_spill_count: 0
    .symbol:         _Z17warp_store_kernelILj256ELj8ELj32ELN6hipcub18WarpStoreAlgorithmE3EiEvPT3_.kd
    .uniform_work_group_size: 1
    .uses_dynamic_stack: false
    .vgpr_count:     13
    .vgpr_spill_count: 0
    .wavefront_size: 32
  - .args:
      - .address_space:  global
        .offset:         0
        .size:           8
        .value_kind:     global_buffer
    .group_segment_fixed_size: 0
    .kernarg_segment_align: 8
    .kernarg_segment_size: 8
    .language:       OpenCL C
    .language_version:
      - 2
      - 0
    .max_flat_workgroup_size: 256
    .name:           _Z17warp_store_kernelILj256ELj16ELj32ELN6hipcub18WarpStoreAlgorithmE0EiEvPT3_
    .private_segment_fixed_size: 0
    .sgpr_count:     5
    .sgpr_spill_count: 0
    .symbol:         _Z17warp_store_kernelILj256ELj16ELj32ELN6hipcub18WarpStoreAlgorithmE0EiEvPT3_.kd
    .uniform_work_group_size: 1
    .uses_dynamic_stack: false
    .vgpr_count:     18
    .vgpr_spill_count: 0
    .wavefront_size: 32
  - .args:
      - .address_space:  global
        .offset:         0
        .size:           8
        .value_kind:     global_buffer
    .group_segment_fixed_size: 0
    .kernarg_segment_align: 8
    .kernarg_segment_size: 8
    .language:       OpenCL C
    .language_version:
      - 2
      - 0
    .max_flat_workgroup_size: 256
    .name:           _Z17warp_store_kernelILj256ELj16ELj32ELN6hipcub18WarpStoreAlgorithmE1EiEvPT3_
    .private_segment_fixed_size: 0
    .sgpr_count:     5
    .sgpr_spill_count: 0
    .symbol:         _Z17warp_store_kernelILj256ELj16ELj32ELN6hipcub18WarpStoreAlgorithmE1EiEvPT3_.kd
    .uniform_work_group_size: 1
    .uses_dynamic_stack: false
    .vgpr_count:     11
    .vgpr_spill_count: 0
    .wavefront_size: 32
  - .args:
      - .address_space:  global
        .offset:         0
        .size:           8
        .value_kind:     global_buffer
    .group_segment_fixed_size: 0
    .kernarg_segment_align: 8
    .kernarg_segment_size: 8
    .language:       OpenCL C
    .language_version:
      - 2
      - 0
    .max_flat_workgroup_size: 256
    .name:           _Z17warp_store_kernelILj256ELj16ELj32ELN6hipcub18WarpStoreAlgorithmE2EiEvPT3_
    .private_segment_fixed_size: 0
    .sgpr_count:     5
    .sgpr_spill_count: 0
    .symbol:         _Z17warp_store_kernelILj256ELj16ELj32ELN6hipcub18WarpStoreAlgorithmE2EiEvPT3_.kd
    .uniform_work_group_size: 1
    .uses_dynamic_stack: false
    .vgpr_count:     18
    .vgpr_spill_count: 0
    .wavefront_size: 32
  - .args:
      - .address_space:  global
        .offset:         0
        .size:           8
        .value_kind:     global_buffer
    .group_segment_fixed_size: 16384
    .kernarg_segment_align: 8
    .kernarg_segment_size: 8
    .language:       OpenCL C
    .language_version:
      - 2
      - 0
    .max_flat_workgroup_size: 256
    .name:           _Z17warp_store_kernelILj256ELj16ELj32ELN6hipcub18WarpStoreAlgorithmE3EiEvPT3_
    .private_segment_fixed_size: 0
    .sgpr_count:     5
    .sgpr_spill_count: 0
    .symbol:         _Z17warp_store_kernelILj256ELj16ELj32ELN6hipcub18WarpStoreAlgorithmE3EiEvPT3_.kd
    .uniform_work_group_size: 1
    .uses_dynamic_stack: false
    .vgpr_count:     21
    .vgpr_spill_count: 0
    .wavefront_size: 32
  - .args:
      - .address_space:  global
        .offset:         0
        .size:           8
        .value_kind:     global_buffer
    .group_segment_fixed_size: 0
    .kernarg_segment_align: 8
    .kernarg_segment_size: 8
    .language:       OpenCL C
    .language_version:
      - 2
      - 0
    .max_flat_workgroup_size: 256
    .name:           _Z17warp_store_kernelILj256ELj32ELj32ELN6hipcub18WarpStoreAlgorithmE0EiEvPT3_
    .private_segment_fixed_size: 0
    .sgpr_count:     5
    .sgpr_spill_count: 0
    .symbol:         _Z17warp_store_kernelILj256ELj32ELj32ELN6hipcub18WarpStoreAlgorithmE0EiEvPT3_.kd
    .uniform_work_group_size: 1
    .uses_dynamic_stack: false
    .vgpr_count:     26
    .vgpr_spill_count: 0
    .wavefront_size: 32
  - .args:
      - .address_space:  global
        .offset:         0
        .size:           8
        .value_kind:     global_buffer
    .group_segment_fixed_size: 0
    .kernarg_segment_align: 8
    .kernarg_segment_size: 8
    .language:       OpenCL C
    .language_version:
      - 2
      - 0
    .max_flat_workgroup_size: 256
    .name:           _Z17warp_store_kernelILj256ELj32ELj32ELN6hipcub18WarpStoreAlgorithmE1EiEvPT3_
    .private_segment_fixed_size: 0
    .sgpr_count:     5
    .sgpr_spill_count: 0
    .symbol:         _Z17warp_store_kernelILj256ELj32ELj32ELN6hipcub18WarpStoreAlgorithmE1EiEvPT3_.kd
    .uniform_work_group_size: 1
    .uses_dynamic_stack: false
    .vgpr_count:     11
    .vgpr_spill_count: 0
    .wavefront_size: 32
  - .args:
      - .address_space:  global
        .offset:         0
        .size:           8
        .value_kind:     global_buffer
    .group_segment_fixed_size: 0
    .kernarg_segment_align: 8
    .kernarg_segment_size: 8
    .language:       OpenCL C
    .language_version:
      - 2
      - 0
    .max_flat_workgroup_size: 256
    .name:           _Z17warp_store_kernelILj256ELj32ELj32ELN6hipcub18WarpStoreAlgorithmE2EiEvPT3_
    .private_segment_fixed_size: 0
    .sgpr_count:     5
    .sgpr_spill_count: 0
    .symbol:         _Z17warp_store_kernelILj256ELj32ELj32ELN6hipcub18WarpStoreAlgorithmE2EiEvPT3_.kd
    .uniform_work_group_size: 1
    .uses_dynamic_stack: false
    .vgpr_count:     26
    .vgpr_spill_count: 0
    .wavefront_size: 32
  - .args:
      - .address_space:  global
        .offset:         0
        .size:           8
        .value_kind:     global_buffer
    .group_segment_fixed_size: 32768
    .kernarg_segment_align: 8
    .kernarg_segment_size: 8
    .language:       OpenCL C
    .language_version:
      - 2
      - 0
    .max_flat_workgroup_size: 256
    .name:           _Z17warp_store_kernelILj256ELj32ELj32ELN6hipcub18WarpStoreAlgorithmE3EiEvPT3_
    .private_segment_fixed_size: 0
    .sgpr_count:     5
    .sgpr_spill_count: 0
    .symbol:         _Z17warp_store_kernelILj256ELj32ELj32ELN6hipcub18WarpStoreAlgorithmE3EiEvPT3_.kd
    .uniform_work_group_size: 1
    .uses_dynamic_stack: false
    .vgpr_count:     34
    .vgpr_spill_count: 0
    .wavefront_size: 32
  - .args:
      - .address_space:  global
        .offset:         0
        .size:           8
        .value_kind:     global_buffer
    .group_segment_fixed_size: 0
    .kernarg_segment_align: 8
    .kernarg_segment_size: 8
    .language:       OpenCL C
    .language_version:
      - 2
      - 0
    .max_flat_workgroup_size: 256
    .name:           _Z17warp_store_kernelILj256ELj64ELj32ELN6hipcub18WarpStoreAlgorithmE0EiEvPT3_
    .private_segment_fixed_size: 0
    .sgpr_count:     5
    .sgpr_spill_count: 0
    .symbol:         _Z17warp_store_kernelILj256ELj64ELj32ELN6hipcub18WarpStoreAlgorithmE0EiEvPT3_.kd
    .uniform_work_group_size: 1
    .uses_dynamic_stack: false
    .vgpr_count:     26
    .vgpr_spill_count: 0
    .wavefront_size: 32
  - .args:
      - .address_space:  global
        .offset:         0
        .size:           8
        .value_kind:     global_buffer
    .group_segment_fixed_size: 0
    .kernarg_segment_align: 8
    .kernarg_segment_size: 8
    .language:       OpenCL C
    .language_version:
      - 2
      - 0
    .max_flat_workgroup_size: 256
    .name:           _Z17warp_store_kernelILj256ELj64ELj32ELN6hipcub18WarpStoreAlgorithmE1EiEvPT3_
    .private_segment_fixed_size: 0
    .sgpr_count:     5
    .sgpr_spill_count: 0
    .symbol:         _Z17warp_store_kernelILj256ELj64ELj32ELN6hipcub18WarpStoreAlgorithmE1EiEvPT3_.kd
    .uniform_work_group_size: 1
    .uses_dynamic_stack: false
    .vgpr_count:     11
    .vgpr_spill_count: 0
    .wavefront_size: 32
  - .args:
      - .address_space:  global
        .offset:         0
        .size:           8
        .value_kind:     global_buffer
    .group_segment_fixed_size: 0
    .kernarg_segment_align: 8
    .kernarg_segment_size: 8
    .language:       OpenCL C
    .language_version:
      - 2
      - 0
    .max_flat_workgroup_size: 256
    .name:           _Z17warp_store_kernelILj256ELj64ELj32ELN6hipcub18WarpStoreAlgorithmE2EiEvPT3_
    .private_segment_fixed_size: 0
    .sgpr_count:     5
    .sgpr_spill_count: 0
    .symbol:         _Z17warp_store_kernelILj256ELj64ELj32ELN6hipcub18WarpStoreAlgorithmE2EiEvPT3_.kd
    .uniform_work_group_size: 1
    .uses_dynamic_stack: false
    .vgpr_count:     26
    .vgpr_spill_count: 0
    .wavefront_size: 32
  - .args:
      - .address_space:  global
        .offset:         0
        .size:           8
        .value_kind:     global_buffer
    .group_segment_fixed_size: 0
    .kernarg_segment_align: 8
    .kernarg_segment_size: 8
    .language:       OpenCL C
    .language_version:
      - 2
      - 0
    .max_flat_workgroup_size: 256
    .name:           _Z17warp_store_kernelILj256ELj4ELj32ELN6hipcub18WarpStoreAlgorithmE0EdEvPT3_
    .private_segment_fixed_size: 0
    .sgpr_count:     5
    .sgpr_spill_count: 0
    .symbol:         _Z17warp_store_kernelILj256ELj4ELj32ELN6hipcub18WarpStoreAlgorithmE0EdEvPT3_.kd
    .uniform_work_group_size: 1
    .uses_dynamic_stack: false
    .vgpr_count:     10
    .vgpr_spill_count: 0
    .wavefront_size: 32
  - .args:
      - .address_space:  global
        .offset:         0
        .size:           8
        .value_kind:     global_buffer
    .group_segment_fixed_size: 0
    .kernarg_segment_align: 8
    .kernarg_segment_size: 8
    .language:       OpenCL C
    .language_version:
      - 2
      - 0
    .max_flat_workgroup_size: 256
    .name:           _Z17warp_store_kernelILj256ELj4ELj32ELN6hipcub18WarpStoreAlgorithmE1EdEvPT3_
    .private_segment_fixed_size: 0
    .sgpr_count:     5
    .sgpr_spill_count: 0
    .symbol:         _Z17warp_store_kernelILj256ELj4ELj32ELN6hipcub18WarpStoreAlgorithmE1EdEvPT3_.kd
    .uniform_work_group_size: 1
    .uses_dynamic_stack: false
    .vgpr_count:     10
    .vgpr_spill_count: 0
    .wavefront_size: 32
  - .args:
      - .address_space:  global
        .offset:         0
        .size:           8
        .value_kind:     global_buffer
    .group_segment_fixed_size: 0
    .kernarg_segment_align: 8
    .kernarg_segment_size: 8
    .language:       OpenCL C
    .language_version:
      - 2
      - 0
    .max_flat_workgroup_size: 256
    .name:           _Z17warp_store_kernelILj256ELj4ELj32ELN6hipcub18WarpStoreAlgorithmE2EdEvPT3_
    .private_segment_fixed_size: 0
    .sgpr_count:     5
    .sgpr_spill_count: 0
    .symbol:         _Z17warp_store_kernelILj256ELj4ELj32ELN6hipcub18WarpStoreAlgorithmE2EdEvPT3_.kd
    .uniform_work_group_size: 1
    .uses_dynamic_stack: false
    .vgpr_count:     10
    .vgpr_spill_count: 0
    .wavefront_size: 32
  - .args:
      - .address_space:  global
        .offset:         0
        .size:           8
        .value_kind:     global_buffer
    .group_segment_fixed_size: 8192
    .kernarg_segment_align: 8
    .kernarg_segment_size: 8
    .language:       OpenCL C
    .language_version:
      - 2
      - 0
    .max_flat_workgroup_size: 256
    .name:           _Z17warp_store_kernelILj256ELj4ELj32ELN6hipcub18WarpStoreAlgorithmE3EdEvPT3_
    .private_segment_fixed_size: 0
    .sgpr_count:     5
    .sgpr_spill_count: 0
    .symbol:         _Z17warp_store_kernelILj256ELj4ELj32ELN6hipcub18WarpStoreAlgorithmE3EdEvPT3_.kd
    .uniform_work_group_size: 1
    .uses_dynamic_stack: false
    .vgpr_count:     13
    .vgpr_spill_count: 0
    .wavefront_size: 32
  - .args:
      - .address_space:  global
        .offset:         0
        .size:           8
        .value_kind:     global_buffer
    .group_segment_fixed_size: 0
    .kernarg_segment_align: 8
    .kernarg_segment_size: 8
    .language:       OpenCL C
    .language_version:
      - 2
      - 0
    .max_flat_workgroup_size: 256
    .name:           _Z17warp_store_kernelILj256ELj8ELj32ELN6hipcub18WarpStoreAlgorithmE0EdEvPT3_
    .private_segment_fixed_size: 0
    .sgpr_count:     5
    .sgpr_spill_count: 0
    .symbol:         _Z17warp_store_kernelILj256ELj8ELj32ELN6hipcub18WarpStoreAlgorithmE0EdEvPT3_.kd
    .uniform_work_group_size: 1
    .uses_dynamic_stack: false
    .vgpr_count:     18
    .vgpr_spill_count: 0
    .wavefront_size: 32
  - .args:
      - .address_space:  global
        .offset:         0
        .size:           8
        .value_kind:     global_buffer
    .group_segment_fixed_size: 0
    .kernarg_segment_align: 8
    .kernarg_segment_size: 8
    .language:       OpenCL C
    .language_version:
      - 2
      - 0
    .max_flat_workgroup_size: 256
    .name:           _Z17warp_store_kernelILj256ELj8ELj32ELN6hipcub18WarpStoreAlgorithmE1EdEvPT3_
    .private_segment_fixed_size: 0
    .sgpr_count:     5
    .sgpr_spill_count: 0
    .symbol:         _Z17warp_store_kernelILj256ELj8ELj32ELN6hipcub18WarpStoreAlgorithmE1EdEvPT3_.kd
    .uniform_work_group_size: 1
    .uses_dynamic_stack: false
    .vgpr_count:     18
    .vgpr_spill_count: 0
    .wavefront_size: 32
  - .args:
      - .address_space:  global
        .offset:         0
        .size:           8
        .value_kind:     global_buffer
    .group_segment_fixed_size: 0
    .kernarg_segment_align: 8
    .kernarg_segment_size: 8
    .language:       OpenCL C
    .language_version:
      - 2
      - 0
    .max_flat_workgroup_size: 256
    .name:           _Z17warp_store_kernelILj256ELj8ELj32ELN6hipcub18WarpStoreAlgorithmE2EdEvPT3_
    .private_segment_fixed_size: 0
    .sgpr_count:     5
    .sgpr_spill_count: 0
    .symbol:         _Z17warp_store_kernelILj256ELj8ELj32ELN6hipcub18WarpStoreAlgorithmE2EdEvPT3_.kd
    .uniform_work_group_size: 1
    .uses_dynamic_stack: false
    .vgpr_count:     18
    .vgpr_spill_count: 0
    .wavefront_size: 32
  - .args:
      - .address_space:  global
        .offset:         0
        .size:           8
        .value_kind:     global_buffer
    .group_segment_fixed_size: 16384
    .kernarg_segment_align: 8
    .kernarg_segment_size: 8
    .language:       OpenCL C
    .language_version:
      - 2
      - 0
    .max_flat_workgroup_size: 256
    .name:           _Z17warp_store_kernelILj256ELj8ELj32ELN6hipcub18WarpStoreAlgorithmE3EdEvPT3_
    .private_segment_fixed_size: 0
    .sgpr_count:     5
    .sgpr_spill_count: 0
    .symbol:         _Z17warp_store_kernelILj256ELj8ELj32ELN6hipcub18WarpStoreAlgorithmE3EdEvPT3_.kd
    .uniform_work_group_size: 1
    .uses_dynamic_stack: false
    .vgpr_count:     21
    .vgpr_spill_count: 0
    .wavefront_size: 32
  - .args:
      - .address_space:  global
        .offset:         0
        .size:           8
        .value_kind:     global_buffer
    .group_segment_fixed_size: 0
    .kernarg_segment_align: 8
    .kernarg_segment_size: 8
    .language:       OpenCL C
    .language_version:
      - 2
      - 0
    .max_flat_workgroup_size: 256
    .name:           _Z17warp_store_kernelILj256ELj16ELj32ELN6hipcub18WarpStoreAlgorithmE0EdEvPT3_
    .private_segment_fixed_size: 0
    .sgpr_count:     5
    .sgpr_spill_count: 0
    .symbol:         _Z17warp_store_kernelILj256ELj16ELj32ELN6hipcub18WarpStoreAlgorithmE0EdEvPT3_.kd
    .uniform_work_group_size: 1
    .uses_dynamic_stack: false
    .vgpr_count:     30
    .vgpr_spill_count: 0
    .wavefront_size: 32
  - .args:
      - .address_space:  global
        .offset:         0
        .size:           8
        .value_kind:     global_buffer
    .group_segment_fixed_size: 0
    .kernarg_segment_align: 8
    .kernarg_segment_size: 8
    .language:       OpenCL C
    .language_version:
      - 2
      - 0
    .max_flat_workgroup_size: 256
    .name:           _Z17warp_store_kernelILj256ELj16ELj32ELN6hipcub18WarpStoreAlgorithmE1EdEvPT3_
    .private_segment_fixed_size: 0
    .sgpr_count:     5
    .sgpr_spill_count: 0
    .symbol:         _Z17warp_store_kernelILj256ELj16ELj32ELN6hipcub18WarpStoreAlgorithmE1EdEvPT3_.kd
    .uniform_work_group_size: 1
    .uses_dynamic_stack: false
    .vgpr_count:     18
    .vgpr_spill_count: 0
    .wavefront_size: 32
  - .args:
      - .address_space:  global
        .offset:         0
        .size:           8
        .value_kind:     global_buffer
    .group_segment_fixed_size: 0
    .kernarg_segment_align: 8
    .kernarg_segment_size: 8
    .language:       OpenCL C
    .language_version:
      - 2
      - 0
    .max_flat_workgroup_size: 256
    .name:           _Z17warp_store_kernelILj256ELj16ELj32ELN6hipcub18WarpStoreAlgorithmE2EdEvPT3_
    .private_segment_fixed_size: 0
    .sgpr_count:     5
    .sgpr_spill_count: 0
    .symbol:         _Z17warp_store_kernelILj256ELj16ELj32ELN6hipcub18WarpStoreAlgorithmE2EdEvPT3_.kd
    .uniform_work_group_size: 1
    .uses_dynamic_stack: false
    .vgpr_count:     30
    .vgpr_spill_count: 0
    .wavefront_size: 32
  - .args:
      - .address_space:  global
        .offset:         0
        .size:           8
        .value_kind:     global_buffer
    .group_segment_fixed_size: 32768
    .kernarg_segment_align: 8
    .kernarg_segment_size: 8
    .language:       OpenCL C
    .language_version:
      - 2
      - 0
    .max_flat_workgroup_size: 256
    .name:           _Z17warp_store_kernelILj256ELj16ELj32ELN6hipcub18WarpStoreAlgorithmE3EdEvPT3_
    .private_segment_fixed_size: 0
    .sgpr_count:     5
    .sgpr_spill_count: 0
    .symbol:         _Z17warp_store_kernelILj256ELj16ELj32ELN6hipcub18WarpStoreAlgorithmE3EdEvPT3_.kd
    .uniform_work_group_size: 1
    .uses_dynamic_stack: false
    .vgpr_count:     34
    .vgpr_spill_count: 0
    .wavefront_size: 32
  - .args:
      - .address_space:  global
        .offset:         0
        .size:           8
        .value_kind:     global_buffer
    .group_segment_fixed_size: 0
    .kernarg_segment_align: 8
    .kernarg_segment_size: 8
    .language:       OpenCL C
    .language_version:
      - 2
      - 0
    .max_flat_workgroup_size: 256
    .name:           _Z17warp_store_kernelILj256ELj32ELj32ELN6hipcub18WarpStoreAlgorithmE0EdEvPT3_
    .private_segment_fixed_size: 0
    .sgpr_count:     5
    .sgpr_spill_count: 0
    .symbol:         _Z17warp_store_kernelILj256ELj32ELj32ELN6hipcub18WarpStoreAlgorithmE0EdEvPT3_.kd
    .uniform_work_group_size: 1
    .uses_dynamic_stack: false
    .vgpr_count:     28
    .vgpr_spill_count: 0
    .wavefront_size: 32
  - .args:
      - .address_space:  global
        .offset:         0
        .size:           8
        .value_kind:     global_buffer
    .group_segment_fixed_size: 0
    .kernarg_segment_align: 8
    .kernarg_segment_size: 8
    .language:       OpenCL C
    .language_version:
      - 2
      - 0
    .max_flat_workgroup_size: 256
    .name:           _Z17warp_store_kernelILj256ELj32ELj32ELN6hipcub18WarpStoreAlgorithmE1EdEvPT3_
    .private_segment_fixed_size: 0
    .sgpr_count:     5
    .sgpr_spill_count: 0
    .symbol:         _Z17warp_store_kernelILj256ELj32ELj32ELN6hipcub18WarpStoreAlgorithmE1EdEvPT3_.kd
    .uniform_work_group_size: 1
    .uses_dynamic_stack: false
    .vgpr_count:     18
    .vgpr_spill_count: 0
    .wavefront_size: 32
  - .args:
      - .address_space:  global
        .offset:         0
        .size:           8
        .value_kind:     global_buffer
    .group_segment_fixed_size: 0
    .kernarg_segment_align: 8
    .kernarg_segment_size: 8
    .language:       OpenCL C
    .language_version:
      - 2
      - 0
    .max_flat_workgroup_size: 256
    .name:           _Z17warp_store_kernelILj256ELj32ELj32ELN6hipcub18WarpStoreAlgorithmE2EdEvPT3_
    .private_segment_fixed_size: 0
    .sgpr_count:     5
    .sgpr_spill_count: 0
    .symbol:         _Z17warp_store_kernelILj256ELj32ELj32ELN6hipcub18WarpStoreAlgorithmE2EdEvPT3_.kd
    .uniform_work_group_size: 1
    .uses_dynamic_stack: false
    .vgpr_count:     28
    .vgpr_spill_count: 0
    .wavefront_size: 32
  - .args:
      - .address_space:  global
        .offset:         0
        .size:           8
        .value_kind:     global_buffer
    .group_segment_fixed_size: 0
    .kernarg_segment_align: 8
    .kernarg_segment_size: 8
    .language:       OpenCL C
    .language_version:
      - 2
      - 0
    .max_flat_workgroup_size: 256
    .name:           _Z17warp_store_kernelILj256ELj64ELj32ELN6hipcub18WarpStoreAlgorithmE0EdEvPT3_
    .private_segment_fixed_size: 0
    .sgpr_count:     5
    .sgpr_spill_count: 0
    .symbol:         _Z17warp_store_kernelILj256ELj64ELj32ELN6hipcub18WarpStoreAlgorithmE0EdEvPT3_.kd
    .uniform_work_group_size: 1
    .uses_dynamic_stack: false
    .vgpr_count:     30
    .vgpr_spill_count: 0
    .wavefront_size: 32
  - .args:
      - .address_space:  global
        .offset:         0
        .size:           8
        .value_kind:     global_buffer
    .group_segment_fixed_size: 0
    .kernarg_segment_align: 8
    .kernarg_segment_size: 8
    .language:       OpenCL C
    .language_version:
      - 2
      - 0
    .max_flat_workgroup_size: 256
    .name:           _Z17warp_store_kernelILj256ELj64ELj32ELN6hipcub18WarpStoreAlgorithmE1EdEvPT3_
    .private_segment_fixed_size: 0
    .sgpr_count:     5
    .sgpr_spill_count: 0
    .symbol:         _Z17warp_store_kernelILj256ELj64ELj32ELN6hipcub18WarpStoreAlgorithmE1EdEvPT3_.kd
    .uniform_work_group_size: 1
    .uses_dynamic_stack: false
    .vgpr_count:     18
    .vgpr_spill_count: 0
    .wavefront_size: 32
  - .args:
      - .address_space:  global
        .offset:         0
        .size:           8
        .value_kind:     global_buffer
    .group_segment_fixed_size: 0
    .kernarg_segment_align: 8
    .kernarg_segment_size: 8
    .language:       OpenCL C
    .language_version:
      - 2
      - 0
    .max_flat_workgroup_size: 256
    .name:           _Z17warp_store_kernelILj256ELj64ELj32ELN6hipcub18WarpStoreAlgorithmE2EdEvPT3_
    .private_segment_fixed_size: 0
    .sgpr_count:     5
    .sgpr_spill_count: 0
    .symbol:         _Z17warp_store_kernelILj256ELj64ELj32ELN6hipcub18WarpStoreAlgorithmE2EdEvPT3_.kd
    .uniform_work_group_size: 1
    .uses_dynamic_stack: false
    .vgpr_count:     30
    .vgpr_spill_count: 0
    .wavefront_size: 32
  - .args:
      - .address_space:  global
        .offset:         0
        .size:           8
        .value_kind:     global_buffer
    .group_segment_fixed_size: 0
    .kernarg_segment_align: 8
    .kernarg_segment_size: 8
    .language:       OpenCL C
    .language_version:
      - 2
      - 0
    .max_flat_workgroup_size: 256
    .name:           _Z17warp_store_kernelILj256ELj4ELj64ELN6hipcub18WarpStoreAlgorithmE0EiEvPT3_
    .private_segment_fixed_size: 0
    .sgpr_count:     5
    .sgpr_spill_count: 0
    .symbol:         _Z17warp_store_kernelILj256ELj4ELj64ELN6hipcub18WarpStoreAlgorithmE0EiEvPT3_.kd
    .uniform_work_group_size: 1
    .uses_dynamic_stack: false
    .vgpr_count:     8
    .vgpr_spill_count: 0
    .wavefront_size: 32
  - .args:
      - .address_space:  global
        .offset:         0
        .size:           8
        .value_kind:     global_buffer
    .group_segment_fixed_size: 0
    .kernarg_segment_align: 8
    .kernarg_segment_size: 8
    .language:       OpenCL C
    .language_version:
      - 2
      - 0
    .max_flat_workgroup_size: 256
    .name:           _Z17warp_store_kernelILj256ELj4ELj64ELN6hipcub18WarpStoreAlgorithmE1EiEvPT3_
    .private_segment_fixed_size: 0
    .sgpr_count:     5
    .sgpr_spill_count: 0
    .symbol:         _Z17warp_store_kernelILj256ELj4ELj64ELN6hipcub18WarpStoreAlgorithmE1EiEvPT3_.kd
    .uniform_work_group_size: 1
    .uses_dynamic_stack: false
    .vgpr_count:     6
    .vgpr_spill_count: 0
    .wavefront_size: 32
  - .args:
      - .address_space:  global
        .offset:         0
        .size:           8
        .value_kind:     global_buffer
    .group_segment_fixed_size: 0
    .kernarg_segment_align: 8
    .kernarg_segment_size: 8
    .language:       OpenCL C
    .language_version:
      - 2
      - 0
    .max_flat_workgroup_size: 256
    .name:           _Z17warp_store_kernelILj256ELj4ELj64ELN6hipcub18WarpStoreAlgorithmE2EiEvPT3_
    .private_segment_fixed_size: 0
    .sgpr_count:     5
    .sgpr_spill_count: 0
    .symbol:         _Z17warp_store_kernelILj256ELj4ELj64ELN6hipcub18WarpStoreAlgorithmE2EiEvPT3_.kd
    .uniform_work_group_size: 1
    .uses_dynamic_stack: false
    .vgpr_count:     8
    .vgpr_spill_count: 0
    .wavefront_size: 32
  - .args:
      - .address_space:  global
        .offset:         0
        .size:           8
        .value_kind:     global_buffer
    .group_segment_fixed_size: 4096
    .kernarg_segment_align: 8
    .kernarg_segment_size: 8
    .language:       OpenCL C
    .language_version:
      - 2
      - 0
    .max_flat_workgroup_size: 256
    .name:           _Z17warp_store_kernelILj256ELj4ELj64ELN6hipcub18WarpStoreAlgorithmE3EiEvPT3_
    .private_segment_fixed_size: 0
    .sgpr_count:     5
    .sgpr_spill_count: 0
    .symbol:         _Z17warp_store_kernelILj256ELj4ELj64ELN6hipcub18WarpStoreAlgorithmE3EiEvPT3_.kd
    .uniform_work_group_size: 1
    .uses_dynamic_stack: false
    .vgpr_count:     10
    .vgpr_spill_count: 0
    .wavefront_size: 32
  - .args:
      - .address_space:  global
        .offset:         0
        .size:           8
        .value_kind:     global_buffer
    .group_segment_fixed_size: 0
    .kernarg_segment_align: 8
    .kernarg_segment_size: 8
    .language:       OpenCL C
    .language_version:
      - 2
      - 0
    .max_flat_workgroup_size: 256
    .name:           _Z17warp_store_kernelILj256ELj8ELj64ELN6hipcub18WarpStoreAlgorithmE0EiEvPT3_
    .private_segment_fixed_size: 0
    .sgpr_count:     5
    .sgpr_spill_count: 0
    .symbol:         _Z17warp_store_kernelILj256ELj8ELj64ELN6hipcub18WarpStoreAlgorithmE0EiEvPT3_.kd
    .uniform_work_group_size: 1
    .uses_dynamic_stack: false
    .vgpr_count:     10
    .vgpr_spill_count: 0
    .wavefront_size: 32
  - .args:
      - .address_space:  global
        .offset:         0
        .size:           8
        .value_kind:     global_buffer
    .group_segment_fixed_size: 0
    .kernarg_segment_align: 8
    .kernarg_segment_size: 8
    .language:       OpenCL C
    .language_version:
      - 2
      - 0
    .max_flat_workgroup_size: 256
    .name:           _Z17warp_store_kernelILj256ELj8ELj64ELN6hipcub18WarpStoreAlgorithmE1EiEvPT3_
    .private_segment_fixed_size: 0
    .sgpr_count:     5
    .sgpr_spill_count: 0
    .symbol:         _Z17warp_store_kernelILj256ELj8ELj64ELN6hipcub18WarpStoreAlgorithmE1EiEvPT3_.kd
    .uniform_work_group_size: 1
    .uses_dynamic_stack: false
    .vgpr_count:     10
    .vgpr_spill_count: 0
    .wavefront_size: 32
  - .args:
      - .address_space:  global
        .offset:         0
        .size:           8
        .value_kind:     global_buffer
    .group_segment_fixed_size: 0
    .kernarg_segment_align: 8
    .kernarg_segment_size: 8
    .language:       OpenCL C
    .language_version:
      - 2
      - 0
    .max_flat_workgroup_size: 256
    .name:           _Z17warp_store_kernelILj256ELj8ELj64ELN6hipcub18WarpStoreAlgorithmE2EiEvPT3_
    .private_segment_fixed_size: 0
    .sgpr_count:     5
    .sgpr_spill_count: 0
    .symbol:         _Z17warp_store_kernelILj256ELj8ELj64ELN6hipcub18WarpStoreAlgorithmE2EiEvPT3_.kd
    .uniform_work_group_size: 1
    .uses_dynamic_stack: false
    .vgpr_count:     10
    .vgpr_spill_count: 0
    .wavefront_size: 32
  - .args:
      - .address_space:  global
        .offset:         0
        .size:           8
        .value_kind:     global_buffer
    .group_segment_fixed_size: 8192
    .kernarg_segment_align: 8
    .kernarg_segment_size: 8
    .language:       OpenCL C
    .language_version:
      - 2
      - 0
    .max_flat_workgroup_size: 256
    .name:           _Z17warp_store_kernelILj256ELj8ELj64ELN6hipcub18WarpStoreAlgorithmE3EiEvPT3_
    .private_segment_fixed_size: 0
    .sgpr_count:     5
    .sgpr_spill_count: 0
    .symbol:         _Z17warp_store_kernelILj256ELj8ELj64ELN6hipcub18WarpStoreAlgorithmE3EiEvPT3_.kd
    .uniform_work_group_size: 1
    .uses_dynamic_stack: false
    .vgpr_count:     14
    .vgpr_spill_count: 0
    .wavefront_size: 32
  - .args:
      - .address_space:  global
        .offset:         0
        .size:           8
        .value_kind:     global_buffer
    .group_segment_fixed_size: 0
    .kernarg_segment_align: 8
    .kernarg_segment_size: 8
    .language:       OpenCL C
    .language_version:
      - 2
      - 0
    .max_flat_workgroup_size: 256
    .name:           _Z17warp_store_kernelILj256ELj16ELj64ELN6hipcub18WarpStoreAlgorithmE0EiEvPT3_
    .private_segment_fixed_size: 0
    .sgpr_count:     5
    .sgpr_spill_count: 0
    .symbol:         _Z17warp_store_kernelILj256ELj16ELj64ELN6hipcub18WarpStoreAlgorithmE0EiEvPT3_.kd
    .uniform_work_group_size: 1
    .uses_dynamic_stack: false
    .vgpr_count:     18
    .vgpr_spill_count: 0
    .wavefront_size: 32
  - .args:
      - .address_space:  global
        .offset:         0
        .size:           8
        .value_kind:     global_buffer
    .group_segment_fixed_size: 0
    .kernarg_segment_align: 8
    .kernarg_segment_size: 8
    .language:       OpenCL C
    .language_version:
      - 2
      - 0
    .max_flat_workgroup_size: 256
    .name:           _Z17warp_store_kernelILj256ELj16ELj64ELN6hipcub18WarpStoreAlgorithmE1EiEvPT3_
    .private_segment_fixed_size: 0
    .sgpr_count:     5
    .sgpr_spill_count: 0
    .symbol:         _Z17warp_store_kernelILj256ELj16ELj64ELN6hipcub18WarpStoreAlgorithmE1EiEvPT3_.kd
    .uniform_work_group_size: 1
    .uses_dynamic_stack: false
    .vgpr_count:     11
    .vgpr_spill_count: 0
    .wavefront_size: 32
  - .args:
      - .address_space:  global
        .offset:         0
        .size:           8
        .value_kind:     global_buffer
    .group_segment_fixed_size: 0
    .kernarg_segment_align: 8
    .kernarg_segment_size: 8
    .language:       OpenCL C
    .language_version:
      - 2
      - 0
    .max_flat_workgroup_size: 256
    .name:           _Z17warp_store_kernelILj256ELj16ELj64ELN6hipcub18WarpStoreAlgorithmE2EiEvPT3_
    .private_segment_fixed_size: 0
    .sgpr_count:     5
    .sgpr_spill_count: 0
    .symbol:         _Z17warp_store_kernelILj256ELj16ELj64ELN6hipcub18WarpStoreAlgorithmE2EiEvPT3_.kd
    .uniform_work_group_size: 1
    .uses_dynamic_stack: false
    .vgpr_count:     18
    .vgpr_spill_count: 0
    .wavefront_size: 32
  - .args:
      - .address_space:  global
        .offset:         0
        .size:           8
        .value_kind:     global_buffer
    .group_segment_fixed_size: 16384
    .kernarg_segment_align: 8
    .kernarg_segment_size: 8
    .language:       OpenCL C
    .language_version:
      - 2
      - 0
    .max_flat_workgroup_size: 256
    .name:           _Z17warp_store_kernelILj256ELj16ELj64ELN6hipcub18WarpStoreAlgorithmE3EiEvPT3_
    .private_segment_fixed_size: 0
    .sgpr_count:     5
    .sgpr_spill_count: 0
    .symbol:         _Z17warp_store_kernelILj256ELj16ELj64ELN6hipcub18WarpStoreAlgorithmE3EiEvPT3_.kd
    .uniform_work_group_size: 1
    .uses_dynamic_stack: false
    .vgpr_count:     22
    .vgpr_spill_count: 0
    .wavefront_size: 32
  - .args:
      - .address_space:  global
        .offset:         0
        .size:           8
        .value_kind:     global_buffer
    .group_segment_fixed_size: 0
    .kernarg_segment_align: 8
    .kernarg_segment_size: 8
    .language:       OpenCL C
    .language_version:
      - 2
      - 0
    .max_flat_workgroup_size: 256
    .name:           _Z17warp_store_kernelILj256ELj32ELj64ELN6hipcub18WarpStoreAlgorithmE0EiEvPT3_
    .private_segment_fixed_size: 0
    .sgpr_count:     5
    .sgpr_spill_count: 0
    .symbol:         _Z17warp_store_kernelILj256ELj32ELj64ELN6hipcub18WarpStoreAlgorithmE0EiEvPT3_.kd
    .uniform_work_group_size: 1
    .uses_dynamic_stack: false
    .vgpr_count:     26
    .vgpr_spill_count: 0
    .wavefront_size: 32
  - .args:
      - .address_space:  global
        .offset:         0
        .size:           8
        .value_kind:     global_buffer
    .group_segment_fixed_size: 0
    .kernarg_segment_align: 8
    .kernarg_segment_size: 8
    .language:       OpenCL C
    .language_version:
      - 2
      - 0
    .max_flat_workgroup_size: 256
    .name:           _Z17warp_store_kernelILj256ELj32ELj64ELN6hipcub18WarpStoreAlgorithmE1EiEvPT3_
    .private_segment_fixed_size: 0
    .sgpr_count:     5
    .sgpr_spill_count: 0
    .symbol:         _Z17warp_store_kernelILj256ELj32ELj64ELN6hipcub18WarpStoreAlgorithmE1EiEvPT3_.kd
    .uniform_work_group_size: 1
    .uses_dynamic_stack: false
    .vgpr_count:     11
    .vgpr_spill_count: 0
    .wavefront_size: 32
  - .args:
      - .address_space:  global
        .offset:         0
        .size:           8
        .value_kind:     global_buffer
    .group_segment_fixed_size: 0
    .kernarg_segment_align: 8
    .kernarg_segment_size: 8
    .language:       OpenCL C
    .language_version:
      - 2
      - 0
    .max_flat_workgroup_size: 256
    .name:           _Z17warp_store_kernelILj256ELj32ELj64ELN6hipcub18WarpStoreAlgorithmE2EiEvPT3_
    .private_segment_fixed_size: 0
    .sgpr_count:     5
    .sgpr_spill_count: 0
    .symbol:         _Z17warp_store_kernelILj256ELj32ELj64ELN6hipcub18WarpStoreAlgorithmE2EiEvPT3_.kd
    .uniform_work_group_size: 1
    .uses_dynamic_stack: false
    .vgpr_count:     26
    .vgpr_spill_count: 0
    .wavefront_size: 32
  - .args:
      - .address_space:  global
        .offset:         0
        .size:           8
        .value_kind:     global_buffer
    .group_segment_fixed_size: 32768
    .kernarg_segment_align: 8
    .kernarg_segment_size: 8
    .language:       OpenCL C
    .language_version:
      - 2
      - 0
    .max_flat_workgroup_size: 256
    .name:           _Z17warp_store_kernelILj256ELj32ELj64ELN6hipcub18WarpStoreAlgorithmE3EiEvPT3_
    .private_segment_fixed_size: 0
    .sgpr_count:     5
    .sgpr_spill_count: 0
    .symbol:         _Z17warp_store_kernelILj256ELj32ELj64ELN6hipcub18WarpStoreAlgorithmE3EiEvPT3_.kd
    .uniform_work_group_size: 1
    .uses_dynamic_stack: false
    .vgpr_count:     34
    .vgpr_spill_count: 0
    .wavefront_size: 32
  - .args:
      - .address_space:  global
        .offset:         0
        .size:           8
        .value_kind:     global_buffer
    .group_segment_fixed_size: 0
    .kernarg_segment_align: 8
    .kernarg_segment_size: 8
    .language:       OpenCL C
    .language_version:
      - 2
      - 0
    .max_flat_workgroup_size: 256
    .name:           _Z17warp_store_kernelILj256ELj64ELj64ELN6hipcub18WarpStoreAlgorithmE0EiEvPT3_
    .private_segment_fixed_size: 0
    .sgpr_count:     5
    .sgpr_spill_count: 0
    .symbol:         _Z17warp_store_kernelILj256ELj64ELj64ELN6hipcub18WarpStoreAlgorithmE0EiEvPT3_.kd
    .uniform_work_group_size: 1
    .uses_dynamic_stack: false
    .vgpr_count:     26
    .vgpr_spill_count: 0
    .wavefront_size: 32
  - .args:
      - .address_space:  global
        .offset:         0
        .size:           8
        .value_kind:     global_buffer
    .group_segment_fixed_size: 0
    .kernarg_segment_align: 8
    .kernarg_segment_size: 8
    .language:       OpenCL C
    .language_version:
      - 2
      - 0
    .max_flat_workgroup_size: 256
    .name:           _Z17warp_store_kernelILj256ELj64ELj64ELN6hipcub18WarpStoreAlgorithmE1EiEvPT3_
    .private_segment_fixed_size: 0
    .sgpr_count:     5
    .sgpr_spill_count: 0
    .symbol:         _Z17warp_store_kernelILj256ELj64ELj64ELN6hipcub18WarpStoreAlgorithmE1EiEvPT3_.kd
    .uniform_work_group_size: 1
    .uses_dynamic_stack: false
    .vgpr_count:     11
    .vgpr_spill_count: 0
    .wavefront_size: 32
  - .args:
      - .address_space:  global
        .offset:         0
        .size:           8
        .value_kind:     global_buffer
    .group_segment_fixed_size: 0
    .kernarg_segment_align: 8
    .kernarg_segment_size: 8
    .language:       OpenCL C
    .language_version:
      - 2
      - 0
    .max_flat_workgroup_size: 256
    .name:           _Z17warp_store_kernelILj256ELj64ELj64ELN6hipcub18WarpStoreAlgorithmE2EiEvPT3_
    .private_segment_fixed_size: 0
    .sgpr_count:     5
    .sgpr_spill_count: 0
    .symbol:         _Z17warp_store_kernelILj256ELj64ELj64ELN6hipcub18WarpStoreAlgorithmE2EiEvPT3_.kd
    .uniform_work_group_size: 1
    .uses_dynamic_stack: false
    .vgpr_count:     26
    .vgpr_spill_count: 0
    .wavefront_size: 32
  - .args:
      - .address_space:  global
        .offset:         0
        .size:           8
        .value_kind:     global_buffer
    .group_segment_fixed_size: 0
    .kernarg_segment_align: 8
    .kernarg_segment_size: 8
    .language:       OpenCL C
    .language_version:
      - 2
      - 0
    .max_flat_workgroup_size: 256
    .name:           _Z17warp_store_kernelILj256ELj4ELj64ELN6hipcub18WarpStoreAlgorithmE0EdEvPT3_
    .private_segment_fixed_size: 0
    .sgpr_count:     5
    .sgpr_spill_count: 0
    .symbol:         _Z17warp_store_kernelILj256ELj4ELj64ELN6hipcub18WarpStoreAlgorithmE0EdEvPT3_.kd
    .uniform_work_group_size: 1
    .uses_dynamic_stack: false
    .vgpr_count:     10
    .vgpr_spill_count: 0
    .wavefront_size: 32
  - .args:
      - .address_space:  global
        .offset:         0
        .size:           8
        .value_kind:     global_buffer
    .group_segment_fixed_size: 0
    .kernarg_segment_align: 8
    .kernarg_segment_size: 8
    .language:       OpenCL C
    .language_version:
      - 2
      - 0
    .max_flat_workgroup_size: 256
    .name:           _Z17warp_store_kernelILj256ELj4ELj64ELN6hipcub18WarpStoreAlgorithmE1EdEvPT3_
    .private_segment_fixed_size: 0
    .sgpr_count:     5
    .sgpr_spill_count: 0
    .symbol:         _Z17warp_store_kernelILj256ELj4ELj64ELN6hipcub18WarpStoreAlgorithmE1EdEvPT3_.kd
    .uniform_work_group_size: 1
    .uses_dynamic_stack: false
    .vgpr_count:     10
    .vgpr_spill_count: 0
    .wavefront_size: 32
  - .args:
      - .address_space:  global
        .offset:         0
        .size:           8
        .value_kind:     global_buffer
    .group_segment_fixed_size: 0
    .kernarg_segment_align: 8
    .kernarg_segment_size: 8
    .language:       OpenCL C
    .language_version:
      - 2
      - 0
    .max_flat_workgroup_size: 256
    .name:           _Z17warp_store_kernelILj256ELj4ELj64ELN6hipcub18WarpStoreAlgorithmE2EdEvPT3_
    .private_segment_fixed_size: 0
    .sgpr_count:     5
    .sgpr_spill_count: 0
    .symbol:         _Z17warp_store_kernelILj256ELj4ELj64ELN6hipcub18WarpStoreAlgorithmE2EdEvPT3_.kd
    .uniform_work_group_size: 1
    .uses_dynamic_stack: false
    .vgpr_count:     10
    .vgpr_spill_count: 0
    .wavefront_size: 32
  - .args:
      - .address_space:  global
        .offset:         0
        .size:           8
        .value_kind:     global_buffer
    .group_segment_fixed_size: 8192
    .kernarg_segment_align: 8
    .kernarg_segment_size: 8
    .language:       OpenCL C
    .language_version:
      - 2
      - 0
    .max_flat_workgroup_size: 256
    .name:           _Z17warp_store_kernelILj256ELj4ELj64ELN6hipcub18WarpStoreAlgorithmE3EdEvPT3_
    .private_segment_fixed_size: 0
    .sgpr_count:     5
    .sgpr_spill_count: 0
    .symbol:         _Z17warp_store_kernelILj256ELj4ELj64ELN6hipcub18WarpStoreAlgorithmE3EdEvPT3_.kd
    .uniform_work_group_size: 1
    .uses_dynamic_stack: false
    .vgpr_count:     13
    .vgpr_spill_count: 0
    .wavefront_size: 32
  - .args:
      - .address_space:  global
        .offset:         0
        .size:           8
        .value_kind:     global_buffer
    .group_segment_fixed_size: 0
    .kernarg_segment_align: 8
    .kernarg_segment_size: 8
    .language:       OpenCL C
    .language_version:
      - 2
      - 0
    .max_flat_workgroup_size: 256
    .name:           _Z17warp_store_kernelILj256ELj8ELj64ELN6hipcub18WarpStoreAlgorithmE0EdEvPT3_
    .private_segment_fixed_size: 0
    .sgpr_count:     5
    .sgpr_spill_count: 0
    .symbol:         _Z17warp_store_kernelILj256ELj8ELj64ELN6hipcub18WarpStoreAlgorithmE0EdEvPT3_.kd
    .uniform_work_group_size: 1
    .uses_dynamic_stack: false
    .vgpr_count:     18
    .vgpr_spill_count: 0
    .wavefront_size: 32
  - .args:
      - .address_space:  global
        .offset:         0
        .size:           8
        .value_kind:     global_buffer
    .group_segment_fixed_size: 0
    .kernarg_segment_align: 8
    .kernarg_segment_size: 8
    .language:       OpenCL C
    .language_version:
      - 2
      - 0
    .max_flat_workgroup_size: 256
    .name:           _Z17warp_store_kernelILj256ELj8ELj64ELN6hipcub18WarpStoreAlgorithmE1EdEvPT3_
    .private_segment_fixed_size: 0
    .sgpr_count:     5
    .sgpr_spill_count: 0
    .symbol:         _Z17warp_store_kernelILj256ELj8ELj64ELN6hipcub18WarpStoreAlgorithmE1EdEvPT3_.kd
    .uniform_work_group_size: 1
    .uses_dynamic_stack: false
    .vgpr_count:     18
    .vgpr_spill_count: 0
    .wavefront_size: 32
  - .args:
      - .address_space:  global
        .offset:         0
        .size:           8
        .value_kind:     global_buffer
    .group_segment_fixed_size: 0
    .kernarg_segment_align: 8
    .kernarg_segment_size: 8
    .language:       OpenCL C
    .language_version:
      - 2
      - 0
    .max_flat_workgroup_size: 256
    .name:           _Z17warp_store_kernelILj256ELj8ELj64ELN6hipcub18WarpStoreAlgorithmE2EdEvPT3_
    .private_segment_fixed_size: 0
    .sgpr_count:     5
    .sgpr_spill_count: 0
    .symbol:         _Z17warp_store_kernelILj256ELj8ELj64ELN6hipcub18WarpStoreAlgorithmE2EdEvPT3_.kd
    .uniform_work_group_size: 1
    .uses_dynamic_stack: false
    .vgpr_count:     18
    .vgpr_spill_count: 0
    .wavefront_size: 32
  - .args:
      - .address_space:  global
        .offset:         0
        .size:           8
        .value_kind:     global_buffer
    .group_segment_fixed_size: 16384
    .kernarg_segment_align: 8
    .kernarg_segment_size: 8
    .language:       OpenCL C
    .language_version:
      - 2
      - 0
    .max_flat_workgroup_size: 256
    .name:           _Z17warp_store_kernelILj256ELj8ELj64ELN6hipcub18WarpStoreAlgorithmE3EdEvPT3_
    .private_segment_fixed_size: 0
    .sgpr_count:     5
    .sgpr_spill_count: 0
    .symbol:         _Z17warp_store_kernelILj256ELj8ELj64ELN6hipcub18WarpStoreAlgorithmE3EdEvPT3_.kd
    .uniform_work_group_size: 1
    .uses_dynamic_stack: false
    .vgpr_count:     22
    .vgpr_spill_count: 0
    .wavefront_size: 32
  - .args:
      - .address_space:  global
        .offset:         0
        .size:           8
        .value_kind:     global_buffer
    .group_segment_fixed_size: 0
    .kernarg_segment_align: 8
    .kernarg_segment_size: 8
    .language:       OpenCL C
    .language_version:
      - 2
      - 0
    .max_flat_workgroup_size: 256
    .name:           _Z17warp_store_kernelILj256ELj16ELj64ELN6hipcub18WarpStoreAlgorithmE0EdEvPT3_
    .private_segment_fixed_size: 0
    .sgpr_count:     5
    .sgpr_spill_count: 0
    .symbol:         _Z17warp_store_kernelILj256ELj16ELj64ELN6hipcub18WarpStoreAlgorithmE0EdEvPT3_.kd
    .uniform_work_group_size: 1
    .uses_dynamic_stack: false
    .vgpr_count:     30
    .vgpr_spill_count: 0
    .wavefront_size: 32
  - .args:
      - .address_space:  global
        .offset:         0
        .size:           8
        .value_kind:     global_buffer
    .group_segment_fixed_size: 0
    .kernarg_segment_align: 8
    .kernarg_segment_size: 8
    .language:       OpenCL C
    .language_version:
      - 2
      - 0
    .max_flat_workgroup_size: 256
    .name:           _Z17warp_store_kernelILj256ELj16ELj64ELN6hipcub18WarpStoreAlgorithmE1EdEvPT3_
    .private_segment_fixed_size: 0
    .sgpr_count:     5
    .sgpr_spill_count: 0
    .symbol:         _Z17warp_store_kernelILj256ELj16ELj64ELN6hipcub18WarpStoreAlgorithmE1EdEvPT3_.kd
    .uniform_work_group_size: 1
    .uses_dynamic_stack: false
    .vgpr_count:     18
    .vgpr_spill_count: 0
    .wavefront_size: 32
  - .args:
      - .address_space:  global
        .offset:         0
        .size:           8
        .value_kind:     global_buffer
    .group_segment_fixed_size: 0
    .kernarg_segment_align: 8
    .kernarg_segment_size: 8
    .language:       OpenCL C
    .language_version:
      - 2
      - 0
    .max_flat_workgroup_size: 256
    .name:           _Z17warp_store_kernelILj256ELj16ELj64ELN6hipcub18WarpStoreAlgorithmE2EdEvPT3_
    .private_segment_fixed_size: 0
    .sgpr_count:     5
    .sgpr_spill_count: 0
    .symbol:         _Z17warp_store_kernelILj256ELj16ELj64ELN6hipcub18WarpStoreAlgorithmE2EdEvPT3_.kd
    .uniform_work_group_size: 1
    .uses_dynamic_stack: false
    .vgpr_count:     30
    .vgpr_spill_count: 0
    .wavefront_size: 32
  - .args:
      - .address_space:  global
        .offset:         0
        .size:           8
        .value_kind:     global_buffer
    .group_segment_fixed_size: 0
    .kernarg_segment_align: 8
    .kernarg_segment_size: 8
    .language:       OpenCL C
    .language_version:
      - 2
      - 0
    .max_flat_workgroup_size: 256
    .name:           _Z17warp_store_kernelILj256ELj32ELj64ELN6hipcub18WarpStoreAlgorithmE0EdEvPT3_
    .private_segment_fixed_size: 0
    .sgpr_count:     5
    .sgpr_spill_count: 0
    .symbol:         _Z17warp_store_kernelILj256ELj32ELj64ELN6hipcub18WarpStoreAlgorithmE0EdEvPT3_.kd
    .uniform_work_group_size: 1
    .uses_dynamic_stack: false
    .vgpr_count:     28
    .vgpr_spill_count: 0
    .wavefront_size: 32
  - .args:
      - .address_space:  global
        .offset:         0
        .size:           8
        .value_kind:     global_buffer
    .group_segment_fixed_size: 0
    .kernarg_segment_align: 8
    .kernarg_segment_size: 8
    .language:       OpenCL C
    .language_version:
      - 2
      - 0
    .max_flat_workgroup_size: 256
    .name:           _Z17warp_store_kernelILj256ELj32ELj64ELN6hipcub18WarpStoreAlgorithmE1EdEvPT3_
    .private_segment_fixed_size: 0
    .sgpr_count:     5
    .sgpr_spill_count: 0
    .symbol:         _Z17warp_store_kernelILj256ELj32ELj64ELN6hipcub18WarpStoreAlgorithmE1EdEvPT3_.kd
    .uniform_work_group_size: 1
    .uses_dynamic_stack: false
    .vgpr_count:     18
    .vgpr_spill_count: 0
    .wavefront_size: 32
  - .args:
      - .address_space:  global
        .offset:         0
        .size:           8
        .value_kind:     global_buffer
    .group_segment_fixed_size: 0
    .kernarg_segment_align: 8
    .kernarg_segment_size: 8
    .language:       OpenCL C
    .language_version:
      - 2
      - 0
    .max_flat_workgroup_size: 256
    .name:           _Z17warp_store_kernelILj256ELj32ELj64ELN6hipcub18WarpStoreAlgorithmE2EdEvPT3_
    .private_segment_fixed_size: 0
    .sgpr_count:     5
    .sgpr_spill_count: 0
    .symbol:         _Z17warp_store_kernelILj256ELj32ELj64ELN6hipcub18WarpStoreAlgorithmE2EdEvPT3_.kd
    .uniform_work_group_size: 1
    .uses_dynamic_stack: false
    .vgpr_count:     28
    .vgpr_spill_count: 0
    .wavefront_size: 32
  - .args:
      - .address_space:  global
        .offset:         0
        .size:           8
        .value_kind:     global_buffer
    .group_segment_fixed_size: 0
    .kernarg_segment_align: 8
    .kernarg_segment_size: 8
    .language:       OpenCL C
    .language_version:
      - 2
      - 0
    .max_flat_workgroup_size: 256
    .name:           _Z17warp_store_kernelILj256ELj64ELj64ELN6hipcub18WarpStoreAlgorithmE0EdEvPT3_
    .private_segment_fixed_size: 0
    .sgpr_count:     5
    .sgpr_spill_count: 0
    .symbol:         _Z17warp_store_kernelILj256ELj64ELj64ELN6hipcub18WarpStoreAlgorithmE0EdEvPT3_.kd
    .uniform_work_group_size: 1
    .uses_dynamic_stack: false
    .vgpr_count:     30
    .vgpr_spill_count: 0
    .wavefront_size: 32
  - .args:
      - .address_space:  global
        .offset:         0
        .size:           8
        .value_kind:     global_buffer
    .group_segment_fixed_size: 0
    .kernarg_segment_align: 8
    .kernarg_segment_size: 8
    .language:       OpenCL C
    .language_version:
      - 2
      - 0
    .max_flat_workgroup_size: 256
    .name:           _Z17warp_store_kernelILj256ELj64ELj64ELN6hipcub18WarpStoreAlgorithmE1EdEvPT3_
    .private_segment_fixed_size: 0
    .sgpr_count:     5
    .sgpr_spill_count: 0
    .symbol:         _Z17warp_store_kernelILj256ELj64ELj64ELN6hipcub18WarpStoreAlgorithmE1EdEvPT3_.kd
    .uniform_work_group_size: 1
    .uses_dynamic_stack: false
    .vgpr_count:     18
    .vgpr_spill_count: 0
    .wavefront_size: 32
  - .args:
      - .address_space:  global
        .offset:         0
        .size:           8
        .value_kind:     global_buffer
    .group_segment_fixed_size: 0
    .kernarg_segment_align: 8
    .kernarg_segment_size: 8
    .language:       OpenCL C
    .language_version:
      - 2
      - 0
    .max_flat_workgroup_size: 256
    .name:           _Z17warp_store_kernelILj256ELj64ELj64ELN6hipcub18WarpStoreAlgorithmE2EdEvPT3_
    .private_segment_fixed_size: 0
    .sgpr_count:     5
    .sgpr_spill_count: 0
    .symbol:         _Z17warp_store_kernelILj256ELj64ELj64ELN6hipcub18WarpStoreAlgorithmE2EdEvPT3_.kd
    .uniform_work_group_size: 1
    .uses_dynamic_stack: false
    .vgpr_count:     30
    .vgpr_spill_count: 0
    .wavefront_size: 32
amdhsa.target:   amdgcn-amd-amdhsa--gfx1250
amdhsa.version:
  - 1
  - 2
...

	.end_amdgpu_metadata
